;; amdgpu-corpus repo=ROCm/rocFFT kind=compiled arch=gfx906 opt=O3
	.text
	.amdgcn_target "amdgcn-amd-amdhsa--gfx906"
	.amdhsa_code_object_version 6
	.protected	fft_rtc_fwd_len1360_factors_17_5_16_wgs_255_tpt_85_halfLds_dp_op_CI_CI_unitstride_sbrr_dirReg ; -- Begin function fft_rtc_fwd_len1360_factors_17_5_16_wgs_255_tpt_85_halfLds_dp_op_CI_CI_unitstride_sbrr_dirReg
	.globl	fft_rtc_fwd_len1360_factors_17_5_16_wgs_255_tpt_85_halfLds_dp_op_CI_CI_unitstride_sbrr_dirReg
	.p2align	8
	.type	fft_rtc_fwd_len1360_factors_17_5_16_wgs_255_tpt_85_halfLds_dp_op_CI_CI_unitstride_sbrr_dirReg,@function
fft_rtc_fwd_len1360_factors_17_5_16_wgs_255_tpt_85_halfLds_dp_op_CI_CI_unitstride_sbrr_dirReg: ; @fft_rtc_fwd_len1360_factors_17_5_16_wgs_255_tpt_85_halfLds_dp_op_CI_CI_unitstride_sbrr_dirReg
; %bb.0:
	s_load_dwordx4 s[8:11], s[4:5], 0x58
	s_load_dwordx4 s[12:15], s[4:5], 0x0
	;; [unrolled: 1-line block ×3, first 2 shown]
	v_mul_u32_u24_e32 v1, 0x304, v0
	v_lshrrev_b32_e32 v1, 16, v1
	v_mad_u64_u32 v[68:69], s[0:1], s6, 3, v[1:2]
	v_mov_b32_e32 v1, 0
	v_mov_b32_e32 v70, 0
	;; [unrolled: 1-line block ×3, first 2 shown]
	s_waitcnt lgkmcnt(0)
	v_cmp_lt_u64_e64 s[0:1], s[14:15], 2
	v_mov_b32_e32 v71, 0
	v_mov_b32_e32 v97, v71
	;; [unrolled: 1-line block ×3, first 2 shown]
	s_and_b64 vcc, exec, s[0:1]
	v_mov_b32_e32 v96, v70
	v_mov_b32_e32 v98, v68
	s_cbranch_vccnz .LBB0_8
; %bb.1:
	s_load_dwordx2 s[0:1], s[4:5], 0x10
	s_add_u32 s2, s18, 8
	s_addc_u32 s3, s19, 0
	s_add_u32 s6, s16, 8
	v_mov_b32_e32 v70, 0
	s_addc_u32 s7, s17, 0
	v_mov_b32_e32 v71, 0
	s_waitcnt lgkmcnt(0)
	s_add_u32 s20, s0, 8
	v_mov_b32_e32 v97, v71
	v_mov_b32_e32 v3, v68
	s_addc_u32 s21, s1, 0
	s_mov_b64 s[22:23], 1
	v_mov_b32_e32 v96, v70
	v_mov_b32_e32 v4, v69
.LBB0_2:                                ; =>This Inner Loop Header: Depth=1
	s_load_dwordx2 s[24:25], s[20:21], 0x0
                                        ; implicit-def: $vgpr98_vgpr99
	s_waitcnt lgkmcnt(0)
	v_or_b32_e32 v2, s25, v4
	v_cmp_ne_u64_e32 vcc, 0, v[1:2]
	s_and_saveexec_b64 s[0:1], vcc
	s_xor_b64 s[26:27], exec, s[0:1]
	s_cbranch_execz .LBB0_4
; %bb.3:                                ;   in Loop: Header=BB0_2 Depth=1
	v_cvt_f32_u32_e32 v2, s24
	v_cvt_f32_u32_e32 v5, s25
	s_sub_u32 s0, 0, s24
	s_subb_u32 s1, 0, s25
	v_mac_f32_e32 v2, 0x4f800000, v5
	v_rcp_f32_e32 v2, v2
	v_mul_f32_e32 v2, 0x5f7ffffc, v2
	v_mul_f32_e32 v5, 0x2f800000, v2
	v_trunc_f32_e32 v5, v5
	v_mac_f32_e32 v2, 0xcf800000, v5
	v_cvt_u32_f32_e32 v5, v5
	v_cvt_u32_f32_e32 v2, v2
	v_mul_lo_u32 v6, s0, v5
	v_mul_hi_u32 v7, s0, v2
	v_mul_lo_u32 v9, s1, v2
	v_mul_lo_u32 v8, s0, v2
	v_add_u32_e32 v6, v7, v6
	v_add_u32_e32 v6, v6, v9
	v_mul_hi_u32 v7, v2, v8
	v_mul_lo_u32 v9, v2, v6
	v_mul_hi_u32 v11, v2, v6
	v_mul_hi_u32 v10, v5, v8
	v_mul_lo_u32 v8, v5, v8
	v_mul_hi_u32 v12, v5, v6
	v_add_co_u32_e32 v7, vcc, v7, v9
	v_addc_co_u32_e32 v9, vcc, 0, v11, vcc
	v_mul_lo_u32 v6, v5, v6
	v_add_co_u32_e32 v7, vcc, v7, v8
	v_addc_co_u32_e32 v7, vcc, v9, v10, vcc
	v_addc_co_u32_e32 v8, vcc, 0, v12, vcc
	v_add_co_u32_e32 v6, vcc, v7, v6
	v_addc_co_u32_e32 v7, vcc, 0, v8, vcc
	v_add_co_u32_e32 v2, vcc, v2, v6
	v_addc_co_u32_e32 v5, vcc, v5, v7, vcc
	v_mul_lo_u32 v6, s0, v5
	v_mul_hi_u32 v7, s0, v2
	v_mul_lo_u32 v8, s1, v2
	v_mul_lo_u32 v9, s0, v2
	v_add_u32_e32 v6, v7, v6
	v_add_u32_e32 v6, v6, v8
	v_mul_lo_u32 v10, v2, v6
	v_mul_hi_u32 v11, v2, v9
	v_mul_hi_u32 v12, v2, v6
	;; [unrolled: 1-line block ×3, first 2 shown]
	v_mul_lo_u32 v9, v5, v9
	v_mul_hi_u32 v7, v5, v6
	v_add_co_u32_e32 v10, vcc, v11, v10
	v_addc_co_u32_e32 v11, vcc, 0, v12, vcc
	v_mul_lo_u32 v6, v5, v6
	v_add_co_u32_e32 v9, vcc, v10, v9
	v_addc_co_u32_e32 v8, vcc, v11, v8, vcc
	v_addc_co_u32_e32 v7, vcc, 0, v7, vcc
	v_add_co_u32_e32 v6, vcc, v8, v6
	v_addc_co_u32_e32 v7, vcc, 0, v7, vcc
	v_add_co_u32_e32 v2, vcc, v2, v6
	v_addc_co_u32_e32 v7, vcc, v5, v7, vcc
	v_mad_u64_u32 v[5:6], s[0:1], v3, v7, 0
	v_mul_hi_u32 v8, v3, v2
	v_add_co_u32_e32 v9, vcc, v8, v5
	v_addc_co_u32_e32 v10, vcc, 0, v6, vcc
	v_mad_u64_u32 v[5:6], s[0:1], v4, v2, 0
	v_mad_u64_u32 v[7:8], s[0:1], v4, v7, 0
	v_add_co_u32_e32 v2, vcc, v9, v5
	v_addc_co_u32_e32 v2, vcc, v10, v6, vcc
	v_addc_co_u32_e32 v5, vcc, 0, v8, vcc
	v_add_co_u32_e32 v2, vcc, v2, v7
	v_addc_co_u32_e32 v7, vcc, 0, v5, vcc
	v_mul_lo_u32 v8, s25, v2
	v_mul_lo_u32 v9, s24, v7
	v_mad_u64_u32 v[5:6], s[0:1], s24, v2, 0
	v_add3_u32 v6, v6, v9, v8
	v_sub_u32_e32 v8, v4, v6
	v_mov_b32_e32 v9, s25
	v_sub_co_u32_e32 v5, vcc, v3, v5
	v_subb_co_u32_e64 v8, s[0:1], v8, v9, vcc
	v_subrev_co_u32_e64 v9, s[0:1], s24, v5
	v_subbrev_co_u32_e64 v8, s[0:1], 0, v8, s[0:1]
	v_cmp_le_u32_e64 s[0:1], s25, v8
	v_cndmask_b32_e64 v10, 0, -1, s[0:1]
	v_cmp_le_u32_e64 s[0:1], s24, v9
	v_cndmask_b32_e64 v9, 0, -1, s[0:1]
	v_cmp_eq_u32_e64 s[0:1], s25, v8
	v_cndmask_b32_e64 v8, v10, v9, s[0:1]
	v_add_co_u32_e64 v9, s[0:1], 2, v2
	v_addc_co_u32_e64 v10, s[0:1], 0, v7, s[0:1]
	v_add_co_u32_e64 v11, s[0:1], 1, v2
	v_addc_co_u32_e64 v12, s[0:1], 0, v7, s[0:1]
	v_subb_co_u32_e32 v6, vcc, v4, v6, vcc
	v_cmp_ne_u32_e64 s[0:1], 0, v8
	v_cmp_le_u32_e32 vcc, s25, v6
	v_cndmask_b32_e64 v8, v12, v10, s[0:1]
	v_cndmask_b32_e64 v10, 0, -1, vcc
	v_cmp_le_u32_e32 vcc, s24, v5
	v_cndmask_b32_e64 v5, 0, -1, vcc
	v_cmp_eq_u32_e32 vcc, s25, v6
	v_cndmask_b32_e32 v5, v10, v5, vcc
	v_cmp_ne_u32_e32 vcc, 0, v5
	v_cndmask_b32_e64 v5, v11, v9, s[0:1]
	v_cndmask_b32_e32 v99, v7, v8, vcc
	v_cndmask_b32_e32 v98, v2, v5, vcc
.LBB0_4:                                ;   in Loop: Header=BB0_2 Depth=1
	s_andn2_saveexec_b64 s[0:1], s[26:27]
	s_cbranch_execz .LBB0_6
; %bb.5:                                ;   in Loop: Header=BB0_2 Depth=1
	v_cvt_f32_u32_e32 v2, s24
	s_sub_i32 s26, 0, s24
	v_mov_b32_e32 v99, v1
	v_rcp_iflag_f32_e32 v2, v2
	v_mul_f32_e32 v2, 0x4f7ffffe, v2
	v_cvt_u32_f32_e32 v2, v2
	v_mul_lo_u32 v5, s26, v2
	v_mul_hi_u32 v5, v2, v5
	v_add_u32_e32 v2, v2, v5
	v_mul_hi_u32 v2, v3, v2
	v_mul_lo_u32 v5, v2, s24
	v_add_u32_e32 v6, 1, v2
	v_sub_u32_e32 v5, v3, v5
	v_subrev_u32_e32 v7, s24, v5
	v_cmp_le_u32_e32 vcc, s24, v5
	v_cndmask_b32_e32 v5, v5, v7, vcc
	v_cndmask_b32_e32 v2, v2, v6, vcc
	v_add_u32_e32 v6, 1, v2
	v_cmp_le_u32_e32 vcc, s24, v5
	v_cndmask_b32_e32 v98, v2, v6, vcc
.LBB0_6:                                ;   in Loop: Header=BB0_2 Depth=1
	s_or_b64 exec, exec, s[0:1]
	v_mul_lo_u32 v2, v99, s24
	v_mul_lo_u32 v7, v98, s25
	v_mad_u64_u32 v[5:6], s[0:1], v98, s24, 0
	s_load_dwordx2 s[0:1], s[6:7], 0x0
	s_load_dwordx2 s[24:25], s[2:3], 0x0
	v_add3_u32 v2, v6, v7, v2
	v_sub_co_u32_e32 v3, vcc, v3, v5
	v_subb_co_u32_e32 v2, vcc, v4, v2, vcc
	s_waitcnt lgkmcnt(0)
	v_mul_lo_u32 v4, s0, v2
	v_mul_lo_u32 v5, s1, v3
	v_mad_u64_u32 v[70:71], s[0:1], s0, v3, v[70:71]
	v_mul_lo_u32 v2, s24, v2
	v_mul_lo_u32 v6, s25, v3
	v_mad_u64_u32 v[96:97], s[0:1], s24, v3, v[96:97]
	s_add_u32 s22, s22, 1
	s_addc_u32 s23, s23, 0
	s_add_u32 s2, s2, 8
	v_add3_u32 v97, v6, v97, v2
	s_addc_u32 s3, s3, 0
	v_mov_b32_e32 v2, s14
	s_add_u32 s6, s6, 8
	v_mov_b32_e32 v3, s15
	s_addc_u32 s7, s7, 0
	v_cmp_ge_u64_e32 vcc, s[22:23], v[2:3]
	s_add_u32 s20, s20, 8
	v_add3_u32 v71, v5, v71, v4
	s_addc_u32 s21, s21, 0
	s_cbranch_vccnz .LBB0_8
; %bb.7:                                ;   in Loop: Header=BB0_2 Depth=1
	v_mov_b32_e32 v3, v98
	v_mov_b32_e32 v4, v99
	s_branch .LBB0_2
.LBB0_8:
	s_lshl_b64 s[14:15], s[14:15], 3
	s_load_dwordx2 s[0:1], s[4:5], 0x28
	s_add_u32 s2, s18, s14
	s_mov_b32 s3, 0x3030304
	v_mul_hi_u32 v1, v0, s3
	s_addc_u32 s3, s19, s15
	s_load_dwordx2 s[4:5], s[2:3], 0x0
	s_waitcnt lgkmcnt(0)
	v_cmp_gt_u64_e32 vcc, s[0:1], v[98:99]
	v_mul_u32_u24_e32 v1, 0x55, v1
	v_sub_u32_e32 v101, v0, v1
	v_mov_b32_e32 v100, 0
                                        ; implicit-def: $vgpr14_vgpr15
                                        ; implicit-def: $vgpr22_vgpr23
                                        ; implicit-def: $vgpr26_vgpr27
                                        ; implicit-def: $vgpr10_vgpr11
                                        ; implicit-def: $vgpr6_vgpr7
                                        ; implicit-def: $vgpr62_vgpr63
                                        ; implicit-def: $vgpr58_vgpr59
                                        ; implicit-def: $vgpr50_vgpr51
                                        ; implicit-def: $vgpr46_vgpr47
                                        ; implicit-def: $vgpr42_vgpr43
                                        ; implicit-def: $vgpr38_vgpr39
                                        ; implicit-def: $vgpr34_vgpr35
                                        ; implicit-def: $vgpr18_vgpr19
                                        ; implicit-def: $vgpr30_vgpr31
                                        ; implicit-def: $vgpr54_vgpr55
                                        ; implicit-def: $vgpr66_vgpr67
                                        ; implicit-def: $vgpr2_vgpr3
	s_and_saveexec_b64 s[2:3], vcc
	s_cbranch_execz .LBB0_12
; %bb.9:
	s_movk_i32 s0, 0x50
	v_cmp_gt_u32_e64 s[0:1], s0, v101
                                        ; implicit-def: $vgpr0_vgpr1
                                        ; implicit-def: $vgpr64_vgpr65
                                        ; implicit-def: $vgpr52_vgpr53
                                        ; implicit-def: $vgpr28_vgpr29
                                        ; implicit-def: $vgpr16_vgpr17
                                        ; implicit-def: $vgpr32_vgpr33
                                        ; implicit-def: $vgpr36_vgpr37
                                        ; implicit-def: $vgpr40_vgpr41
                                        ; implicit-def: $vgpr44_vgpr45
                                        ; implicit-def: $vgpr48_vgpr49
                                        ; implicit-def: $vgpr56_vgpr57
                                        ; implicit-def: $vgpr60_vgpr61
                                        ; implicit-def: $vgpr4_vgpr5
                                        ; implicit-def: $vgpr8_vgpr9
                                        ; implicit-def: $vgpr24_vgpr25
                                        ; implicit-def: $vgpr20_vgpr21
                                        ; implicit-def: $vgpr12_vgpr13
	s_and_saveexec_b64 s[6:7], s[0:1]
	s_cbranch_execz .LBB0_11
; %bb.10:
	s_add_u32 s0, s16, s14
	s_addc_u32 s1, s17, s15
	s_load_dwordx2 s[0:1], s[0:1], 0x0
	v_mov_b32_e32 v4, s9
	v_mov_b32_e32 v102, 0
	v_or_b32_e32 v18, 0x280, v101
	v_mov_b32_e32 v19, v102
	s_waitcnt lgkmcnt(0)
	v_mul_lo_u32 v2, s1, v98
	v_mul_lo_u32 v3, s0, v99
	v_mad_u64_u32 v[0:1], s[0:1], s0, v98, 0
	v_lshlrev_b64 v[18:19], 4, v[18:19]
	v_add3_u32 v1, v1, v3, v2
	v_lshlrev_b64 v[0:1], 4, v[0:1]
	v_add_co_u32_e64 v2, s[0:1], s8, v0
	v_addc_co_u32_e64 v3, s[0:1], v4, v1, s[0:1]
	v_lshlrev_b64 v[0:1], 4, v[70:71]
	s_movk_i32 s8, 0x3000
	v_add_co_u32_e64 v28, s[0:1], v2, v0
	v_addc_co_u32_e64 v29, s[0:1], v3, v1, s[0:1]
	v_lshlrev_b64 v[0:1], 4, v[101:102]
	v_add_co_u32_e64 v16, s[0:1], v28, v0
	v_addc_co_u32_e64 v17, s[0:1], v29, v1, s[0:1]
	s_movk_i32 s0, 0x1000
	v_add_co_u32_e64 v69, s[0:1], s0, v16
	v_addc_co_u32_e64 v70, s[0:1], 0, v17, s[0:1]
	s_movk_i32 s0, 0x2000
	v_add_co_u32_e64 v71, s[0:1], s0, v16
	v_addc_co_u32_e64 v72, s[0:1], 0, v17, s[0:1]
	v_add_co_u32_e64 v73, s[0:1], v28, v18
	v_addc_co_u32_e64 v74, s[0:1], v29, v19, s[0:1]
	v_or_b32_e32 v18, 0x500, v101
	v_mov_b32_e32 v19, v102
	v_lshlrev_b64 v[18:19], 4, v[18:19]
	global_load_dwordx4 v[0:3], v[16:17], off
	global_load_dwordx4 v[12:15], v[16:17], off offset:1280
	global_load_dwordx4 v[20:23], v[16:17], off offset:2560
	;; [unrolled: 1-line block ×3, first 2 shown]
	v_add_co_u32_e64 v75, s[0:1], v28, v18
	v_addc_co_u32_e64 v76, s[0:1], v29, v19, s[0:1]
	v_add_co_u32_e64 v77, s[0:1], s8, v16
	v_addc_co_u32_e64 v78, s[0:1], 0, v17, s[0:1]
	s_movk_i32 s0, 0x4000
	v_add_co_u32_e64 v79, s[0:1], s0, v16
	global_load_dwordx4 v[8:11], v[69:70], off offset:1024
	global_load_dwordx4 v[4:7], v[69:70], off offset:2304
	v_addc_co_u32_e64 v80, s[0:1], 0, v17, s[0:1]
	global_load_dwordx4 v[64:67], v[69:70], off offset:3584
	global_load_dwordx4 v[60:63], v[71:72], off offset:768
	global_load_dwordx4 v[56:59], v[73:74], off
	global_load_dwordx4 v[52:55], v[71:72], off offset:3328
	global_load_dwordx4 v[48:51], v[77:78], off offset:512
	;; [unrolled: 1-line block ×7, first 2 shown]
	global_load_dwordx4 v[16:19], v[75:76], off
.LBB0_11:
	s_or_b64 exec, exec, s[6:7]
	v_mov_b32_e32 v100, v101
.LBB0_12:
	s_or_b64 exec, exec, s[2:3]
	s_waitcnt vmcnt(0)
	v_add_f64 v[69:70], v[12:13], v[16:17]
	s_mov_b32 s0, 0x370991
	s_mov_b32 s8, 0x75d4884
	s_mov_b32 s1, 0x3fedd6d0
	s_mov_b32 s9, 0x3fe7a5f6
	v_add_f64 v[71:72], v[14:15], -v[18:19]
	v_add_f64 v[73:74], v[20:21], v[28:29]
	s_mov_b32 s14, 0x5d8e7cdc
	v_mul_f64 v[77:78], v[69:70], s[0:1]
	v_mul_f64 v[79:80], v[69:70], s[8:9]
	s_mov_b32 s44, 0x2a9d6da3
	s_mov_b32 s6, 0x3259b75e
	;; [unrolled: 1-line block ×5, first 2 shown]
	v_add_f64 v[81:82], v[22:23], -v[30:31]
	v_mul_f64 v[75:76], v[73:74], s[8:9]
	v_fma_f64 v[85:86], v[71:72], s[14:15], v[77:78]
	v_add_f64 v[83:84], v[24:25], v[32:33]
	v_mul_f64 v[87:88], v[73:74], s[6:7]
	v_fma_f64 v[102:103], v[71:72], s[44:45], v[79:80]
	s_mov_b32 s16, 0x2b2883cd
	s_mov_b32 s20, 0xeb564b22
	;; [unrolled: 1-line block ×6, first 2 shown]
	v_fma_f64 v[91:92], v[81:82], s[44:45], v[75:76]
	v_add_f64 v[104:105], v[85:86], v[0:1]
	v_add_f64 v[93:94], v[26:27], -v[34:35]
	v_mul_f64 v[85:86], v[83:84], s[16:17]
	v_add_f64 v[89:90], v[8:9], v[36:37]
	v_fma_f64 v[108:109], v[81:82], s[20:21], v[87:88]
	v_add_f64 v[102:103], v[102:103], v[0:1]
	v_mul_f64 v[106:107], v[83:84], s[22:23]
	s_mov_b32 s26, 0x7c9e640b
	s_mov_b32 s28, 0x6c9a05f6
	;; [unrolled: 1-line block ×6, first 2 shown]
	v_add_f64 v[104:105], v[91:92], v[104:105]
	v_fma_f64 v[110:111], v[93:94], s[26:27], v[85:86]
	v_add_f64 v[114:115], v[10:11], -v[38:39]
	v_mul_f64 v[91:92], v[89:90], s[6:7]
	v_add_f64 v[102:103], v[108:109], v[102:103]
	v_fma_f64 v[112:113], v[93:94], s[28:29], v[106:107]
	v_mul_f64 v[108:109], v[89:90], s[24:25]
	s_mov_b32 s37, 0xbfc7851a
	s_mov_b32 s36, 0xacd6c6b4
	v_add_f64 v[104:105], v[110:111], v[104:105]
	v_add_f64 v[110:111], v[4:5], v[40:41]
	v_fma_f64 v[116:117], v[114:115], s[20:21], v[91:92]
	s_mov_b32 s30, 0xc61f0d01
	v_add_f64 v[102:103], v[112:113], v[102:103]
	v_fma_f64 v[118:119], v[114:115], s[36:37], v[108:109]
	s_mov_b32 s18, 0x910ea3b9
	s_mov_b32 s31, 0xbfd183b1
	;; [unrolled: 1-line block ×3, first 2 shown]
	v_add_f64 v[130:131], v[6:7], -v[42:43]
	v_add_f64 v[104:105], v[116:117], v[104:105]
	v_mul_f64 v[112:113], v[110:111], s[30:31]
	v_mul_f64 v[116:117], v[110:111], s[18:19]
	v_add_f64 v[102:103], v[118:119], v[102:103]
	v_add_f64 v[118:119], v[44:45], v[64:65]
	s_mov_b32 s52, 0x923c349f
	s_mov_b32 s50, 0x4363dd80
	;; [unrolled: 1-line block ×4, first 2 shown]
	v_fma_f64 v[124:125], v[130:131], s[52:53], v[112:113]
	v_fma_f64 v[126:127], v[130:131], s[50:51], v[116:117]
	v_add_f64 v[138:139], v[66:67], -v[46:47]
	v_mul_f64 v[120:121], v[118:119], s[22:23]
	v_mul_f64 v[122:123], v[118:119], s[30:31]
	s_mov_b32 s39, 0x3feec746
	s_mov_b32 s38, s52
	v_add_f64 v[140:141], v[62:63], -v[50:51]
	v_add_f64 v[104:105], v[124:125], v[104:105]
	v_add_f64 v[102:103], v[126:127], v[102:103]
	v_add_f64 v[124:125], v[60:61], v[48:49]
	v_fma_f64 v[126:127], v[138:139], s[28:29], v[120:121]
	v_fma_f64 v[134:135], v[138:139], s[38:39], v[122:123]
	s_mov_b32 s41, 0xbfe0d888
	s_mov_b32 s40, s50
	;; [unrolled: 1-line block ×4, first 2 shown]
	v_add_f64 v[142:143], v[58:59], -v[54:55]
	v_mul_f64 v[128:129], v[124:125], s[18:19]
	v_add_f64 v[104:105], v[126:127], v[104:105]
	v_mul_f64 v[132:133], v[124:125], s[16:17]
	v_add_f64 v[126:127], v[56:57], v[52:53]
	v_add_f64 v[102:103], v[134:135], v[102:103]
	s_mov_b32 s47, 0x3fd71e95
	s_mov_b32 s46, s14
	;; [unrolled: 1-line block ×3, first 2 shown]
	v_fma_f64 v[144:145], v[140:141], s[40:41], v[128:129]
	v_mul_hi_u32 v95, v68, s2
	v_fma_f64 v[146:147], v[140:141], s[54:55], v[132:133]
	v_mul_f64 v[134:135], v[126:127], s[24:25]
	v_mul_f64 v[136:137], v[126:127], s[0:1]
	v_lshrrev_b32_e32 v95, 1, v95
	v_lshl_add_u32 v95, v95, 1, v95
	v_sub_u32_e32 v68, v68, v95
	v_add_f64 v[104:105], v[144:145], v[104:105]
	v_mul_u32_u24_e32 v68, 0x550, v68
	v_add_f64 v[102:103], v[146:147], v[102:103]
	v_fma_f64 v[144:145], v[142:143], s[36:37], v[134:135]
	v_fma_f64 v[146:147], v[142:143], s[46:47], v[136:137]
	s_movk_i32 s2, 0x50
	v_cmp_gt_u32_e64 s[2:3], s2, v101
	v_lshlrev_b32_e32 v174, 3, v68
	v_add_f64 v[104:105], v[144:145], v[104:105]
	v_add_f64 v[102:103], v[146:147], v[102:103]
	s_and_saveexec_b64 s[34:35], s[2:3]
	s_cbranch_execz .LBB0_14
; %bb.13:
	v_mul_f64 v[175:176], v[71:72], s[36:37]
	v_mul_f64 v[177:178], v[81:82], s[46:47]
	;; [unrolled: 1-line block ×4, first 2 shown]
	s_mov_b32 s43, 0x3fe58eea
	s_mov_b32 s42, s44
	v_mul_f64 v[185:186], v[114:115], s[42:43]
	v_mul_f64 v[195:196], v[81:82], s[54:55]
	v_fma_f64 v[179:180], v[69:70], s[24:25], v[175:176]
	v_fma_f64 v[183:184], v[73:74], s[0:1], v[177:178]
	v_fma_f64 v[175:176], v[69:70], s[24:25], -v[175:176]
	v_fma_f64 v[187:188], v[83:84], s[18:19], v[181:182]
	v_fma_f64 v[177:178], v[73:74], s[0:1], -v[177:178]
	v_fma_f64 v[197:198], v[69:70], s[18:19], v[189:190]
	v_mul_f64 v[191:192], v[130:131], s[28:29]
	v_fma_f64 v[193:194], v[89:90], s[8:9], v[185:186]
	v_add_f64 v[179:180], v[179:180], v[0:1]
	v_fma_f64 v[181:182], v[83:84], s[18:19], -v[181:182]
	v_add_f64 v[175:176], v[175:176], v[0:1]
	v_mul_f64 v[201:202], v[93:94], s[20:21]
	v_fma_f64 v[203:204], v[73:74], s[16:17], v[195:196]
	v_add_f64 v[197:198], v[197:198], v[0:1]
	s_mov_b32 s49, 0x3fe9895b
	s_mov_b32 s48, s28
	v_add_f64 v[179:180], v[183:184], v[179:180]
	v_fma_f64 v[199:200], v[110:111], s[22:23], v[191:192]
	v_add_f64 v[175:176], v[177:178], v[175:176]
	v_mul_f64 v[183:184], v[140:141], s[52:53]
	v_fma_f64 v[191:192], v[110:111], s[22:23], -v[191:192]
	v_add_f64 v[197:198], v[203:204], v[197:198]
	v_mul_f64 v[203:204], v[130:131], s[14:15]
	s_mov_b32 s57, 0x3fefdd0d
	v_add_f64 v[179:180], v[187:188], v[179:180]
	v_mul_f64 v[187:188], v[138:139], s[54:55]
	v_add_f64 v[175:176], v[181:182], v[175:176]
	s_mov_b32 s56, s20
	v_fma_f64 v[189:190], v[69:70], s[18:19], -v[189:190]
	v_mul_f64 v[209:210], v[71:72], s[28:29]
	v_fma_f64 v[207:208], v[110:111], s[0:1], v[203:204]
	v_fma_f64 v[195:196], v[73:74], s[16:17], -v[195:196]
	v_add_f64 v[177:178], v[193:194], v[179:180]
	v_fma_f64 v[179:180], v[89:90], s[8:9], -v[185:186]
	v_mul_f64 v[185:186], v[114:115], s[48:49]
	v_fma_f64 v[193:194], v[83:84], s[6:7], v[201:202]
	v_fma_f64 v[181:182], v[118:119], s[16:17], v[187:188]
	v_fma_f64 v[187:188], v[118:119], s[16:17], -v[187:188]
	v_add_f64 v[189:190], v[189:190], v[0:1]
	v_fma_f64 v[201:202], v[83:84], s[6:7], -v[201:202]
	v_add_f64 v[177:178], v[199:200], v[177:178]
	v_add_f64 v[175:176], v[179:180], v[175:176]
	v_fma_f64 v[205:206], v[89:90], s[22:23], v[185:186]
	v_add_f64 v[193:194], v[193:194], v[197:198]
	v_mul_f64 v[199:200], v[142:143], s[56:57]
	v_fma_f64 v[179:180], v[124:125], s[30:31], v[183:184]
	v_mul_f64 v[197:198], v[138:139], s[36:37]
	v_fma_f64 v[183:184], v[124:125], s[30:31], -v[183:184]
	v_add_f64 v[177:178], v[181:182], v[177:178]
	v_add_f64 v[175:176], v[191:192], v[175:176]
	;; [unrolled: 1-line block ×4, first 2 shown]
	v_fma_f64 v[191:192], v[126:127], s[6:7], v[199:200]
	v_fma_f64 v[185:186], v[89:90], s[22:23], -v[185:186]
	v_fma_f64 v[205:206], v[118:119], s[24:25], v[197:198]
	v_fma_f64 v[197:198], v[118:119], s[24:25], -v[197:198]
	v_add_f64 v[177:178], v[179:180], v[177:178]
	v_mul_f64 v[179:180], v[140:141], s[42:43]
	v_add_f64 v[175:176], v[187:188], v[175:176]
	v_add_f64 v[193:194], v[207:208], v[193:194]
	v_fma_f64 v[187:188], v[126:127], s[6:7], -v[199:200]
	v_mul_f64 v[199:200], v[142:143], s[52:53]
	v_add_f64 v[189:190], v[201:202], v[189:190]
	v_mul_f64 v[201:202], v[114:115], s[40:41]
	v_add_f64 v[177:178], v[191:192], v[177:178]
	v_fma_f64 v[207:208], v[124:125], s[8:9], v[179:180]
	v_add_f64 v[175:176], v[183:184], v[175:176]
	v_add_f64 v[193:194], v[205:206], v[193:194]
	v_mul_f64 v[191:192], v[81:82], s[38:39]
	v_fma_f64 v[205:206], v[69:70], s[22:23], v[209:210]
	v_fma_f64 v[183:184], v[126:127], s[30:31], v[199:200]
	v_add_f64 v[185:186], v[185:186], v[189:190]
	v_fma_f64 v[189:190], v[126:127], s[30:31], -v[199:200]
	v_mul_f64 v[199:200], v[130:131], s[56:57]
	v_add_f64 v[175:176], v[187:188], v[175:176]
	v_add_f64 v[193:194], v[207:208], v[193:194]
	v_mul_f64 v[187:188], v[93:94], s[14:15]
	v_fma_f64 v[195:196], v[73:74], s[30:31], v[191:192]
	v_fma_f64 v[207:208], v[69:70], s[22:23], -v[209:210]
	v_add_f64 v[205:206], v[205:206], v[0:1]
	v_fma_f64 v[191:192], v[73:74], s[30:31], -v[191:192]
	v_fma_f64 v[179:180], v[124:125], s[8:9], -v[179:180]
	v_mul_f64 v[211:212], v[93:94], s[42:43]
	v_add_f64 v[183:184], v[183:184], v[193:194]
	v_fma_f64 v[193:194], v[110:111], s[0:1], -v[203:204]
	v_fma_f64 v[203:204], v[83:84], s[0:1], v[187:188]
	v_add_f64 v[207:208], v[207:208], v[0:1]
	v_add_f64 v[195:196], v[195:196], v[205:206]
	v_fma_f64 v[205:206], v[89:90], s[18:19], v[201:202]
	v_fma_f64 v[187:188], v[83:84], s[0:1], -v[187:188]
	v_fma_f64 v[201:202], v[89:90], s[18:19], -v[201:202]
	v_add_f64 v[219:220], v[12:13], v[0:1]
	v_add_f64 v[185:186], v[193:194], v[185:186]
	v_mul_f64 v[193:194], v[138:139], s[44:45]
	v_add_f64 v[191:192], v[191:192], v[207:208]
	v_add_f64 v[195:196], v[203:204], v[195:196]
	v_fma_f64 v[203:204], v[110:111], s[6:7], v[199:200]
	v_mul_f64 v[207:208], v[71:72], s[52:53]
	v_fma_f64 v[199:200], v[110:111], s[6:7], -v[199:200]
	v_mul_f64 v[156:157], v[71:72], s[14:15]
	v_add_f64 v[185:186], v[197:198], v[185:186]
	v_fma_f64 v[197:198], v[118:119], s[8:9], v[193:194]
	v_add_f64 v[187:188], v[187:188], v[191:192]
	v_add_f64 v[191:192], v[205:206], v[195:196]
	v_mul_f64 v[195:196], v[140:141], s[36:37]
	v_mul_f64 v[205:206], v[81:82], s[50:51]
	v_fma_f64 v[209:210], v[69:70], s[30:31], v[207:208]
	v_fma_f64 v[193:194], v[118:119], s[8:9], -v[193:194]
	v_add_f64 v[179:180], v[179:180], v[185:186]
	v_mul_f64 v[152:153], v[71:72], s[44:45]
	v_add_f64 v[187:188], v[201:202], v[187:188]
	v_add_f64 v[191:192], v[203:204], v[191:192]
	v_mul_f64 v[201:202], v[142:143], s[54:55]
	v_fma_f64 v[203:204], v[124:125], s[24:25], v[195:196]
	v_fma_f64 v[213:214], v[73:74], s[18:19], v[205:206]
	v_add_f64 v[209:210], v[209:210], v[0:1]
	v_fma_f64 v[195:196], v[124:125], s[24:25], -v[195:196]
	v_add_f64 v[179:180], v[189:190], v[179:180]
	v_add_f64 v[187:188], v[199:200], v[187:188]
	;; [unrolled: 1-line block ×3, first 2 shown]
	v_fma_f64 v[185:186], v[126:127], s[16:17], v[201:202]
	v_mul_f64 v[197:198], v[114:115], s[26:27]
	v_fma_f64 v[199:200], v[83:84], s[8:9], v[211:212]
	v_add_f64 v[209:210], v[213:214], v[209:210]
	v_fma_f64 v[189:190], v[69:70], s[30:31], -v[207:208]
	v_fma_f64 v[201:202], v[126:127], s[16:17], -v[201:202]
	v_add_f64 v[187:188], v[193:194], v[187:188]
	v_add_f64 v[191:192], v[203:204], v[191:192]
	v_mul_f64 v[193:194], v[130:131], s[36:37]
	v_fma_f64 v[203:204], v[89:90], s[16:17], v[197:198]
	v_mul_f64 v[207:208], v[71:72], s[20:21]
	v_add_f64 v[199:200], v[199:200], v[209:210]
	v_add_f64 v[189:190], v[189:190], v[0:1]
	v_fma_f64 v[197:198], v[89:90], s[16:17], -v[197:198]
	v_add_f64 v[187:188], v[195:196], v[187:188]
	v_add_f64 v[185:186], v[185:186], v[191:192]
	v_fma_f64 v[191:192], v[73:74], s[18:19], -v[205:206]
	v_mul_f64 v[195:196], v[138:139], s[56:57]
	v_fma_f64 v[205:206], v[110:111], s[24:25], v[193:194]
	v_add_f64 v[199:200], v[203:204], v[199:200]
	v_fma_f64 v[213:214], v[69:70], s[6:7], v[207:208]
	v_fma_f64 v[207:208], v[69:70], s[6:7], -v[207:208]
	v_add_f64 v[187:188], v[201:202], v[187:188]
	v_fma_f64 v[201:202], v[83:84], s[8:9], -v[211:212]
	v_add_f64 v[189:190], v[191:192], v[189:190]
	v_fma_f64 v[209:210], v[118:119], s[6:7], v[195:196]
	v_mul_f64 v[211:212], v[81:82], s[36:37]
	v_add_f64 v[199:200], v[205:206], v[199:200]
	v_fma_f64 v[193:194], v[110:111], s[24:25], -v[193:194]
	v_add_f64 v[213:214], v[213:214], v[0:1]
	v_add_f64 v[207:208], v[207:208], v[0:1]
	v_mul_f64 v[191:192], v[140:141], s[14:15]
	v_add_f64 v[189:190], v[201:202], v[189:190]
	v_fma_f64 v[195:196], v[118:119], s[6:7], -v[195:196]
	v_fma_f64 v[215:216], v[73:74], s[24:25], v[211:212]
	v_add_f64 v[199:200], v[209:210], v[199:200]
	v_mul_f64 v[209:210], v[93:94], s[38:39]
	v_mul_f64 v[203:204], v[142:143], s[28:29]
	;; [unrolled: 1-line block ×3, first 2 shown]
	v_fma_f64 v[201:202], v[124:125], s[0:1], v[191:192]
	v_add_f64 v[189:190], v[197:198], v[189:190]
	v_fma_f64 v[197:198], v[73:74], s[24:25], -v[211:212]
	v_mul_f64 v[211:212], v[114:115], s[46:47]
	v_add_f64 v[213:214], v[215:216], v[213:214]
	v_add_f64 v[215:216], v[20:21], v[219:220]
	v_fma_f64 v[217:218], v[83:84], s[30:31], v[209:210]
	v_fma_f64 v[191:192], v[124:125], s[0:1], -v[191:192]
	v_fma_f64 v[205:206], v[126:127], s[22:23], v[203:204]
	v_add_f64 v[189:190], v[193:194], v[189:190]
	v_fma_f64 v[193:194], v[83:84], s[30:31], -v[209:210]
	v_add_f64 v[197:198], v[197:198], v[207:208]
	v_mul_f64 v[207:208], v[130:131], s[26:27]
	v_add_f64 v[215:216], v[24:25], v[215:216]
	v_fma_f64 v[209:210], v[89:90], s[0:1], v[211:212]
	v_add_f64 v[213:214], v[217:218], v[213:214]
	v_add_f64 v[199:200], v[201:202], v[199:200]
	;; [unrolled: 1-line block ×3, first 2 shown]
	v_fma_f64 v[195:196], v[89:90], s[0:1], -v[211:212]
	v_add_f64 v[193:194], v[193:194], v[197:198]
	v_fma_f64 v[197:198], v[126:127], s[22:23], -v[203:204]
	v_mul_f64 v[203:204], v[138:139], s[40:41]
	v_add_f64 v[215:216], v[8:9], v[215:216]
	v_add_f64 v[209:210], v[209:210], v[213:214]
	v_mul_f64 v[148:149], v[81:82], s[44:45]
	v_add_f64 v[189:190], v[191:192], v[189:190]
	v_fma_f64 v[191:192], v[110:111], s[16:17], -v[207:208]
	v_add_f64 v[193:194], v[195:196], v[193:194]
	v_mul_f64 v[150:151], v[81:82], s[20:21]
	v_fma_f64 v[213:214], v[118:119], s[18:19], v[203:204]
	v_fma_f64 v[201:202], v[118:119], s[18:19], -v[203:204]
	v_add_f64 v[203:204], v[4:5], v[215:216]
	v_mul_f64 v[81:82], v[81:82], s[28:29]
	v_add_f64 v[77:78], v[77:78], -v[156:157]
	v_fma_f64 v[217:218], v[69:70], s[16:17], -v[71:72]
	v_add_f64 v[191:192], v[191:192], v[193:194]
	v_add_f64 v[79:80], v[79:80], -v[152:153]
	v_mul_f64 v[170:171], v[114:115], s[36:37]
	v_mul_f64 v[146:147], v[142:143], s[36:37]
	s_mov_b32 s37, 0x3fc7851a
	v_fma_f64 v[68:69], v[69:70], s[16:17], v[71:72]
	v_mul_f64 v[144:145], v[93:94], s[26:27]
	v_mul_f64 v[172:173], v[93:94], s[28:29]
	v_add_f64 v[191:192], v[201:202], v[191:192]
	v_add_f64 v[201:202], v[64:65], v[203:204]
	v_mul_f64 v[93:94], v[93:94], s[36:37]
	v_fma_f64 v[221:222], v[73:74], s[22:23], v[81:82]
	v_fma_f64 v[70:71], v[73:74], s[22:23], -v[81:82]
	v_add_f64 v[81:82], v[87:88], -v[150:151]
	v_add_f64 v[74:75], v[75:76], -v[148:149]
	v_add_f64 v[76:77], v[77:78], v[0:1]
	v_add_f64 v[72:73], v[217:218], v[0:1]
	v_add_f64 v[201:202], v[60:61], v[201:202]
	v_add_f64 v[78:79], v[79:80], v[0:1]
	v_add_f64 v[0:1], v[68:69], v[0:1]
	v_mul_f64 v[168:169], v[114:115], s[20:21]
	v_fma_f64 v[219:220], v[83:84], s[24:25], v[93:94]
	v_fma_f64 v[68:69], v[83:84], s[24:25], -v[93:94]
	v_add_f64 v[83:84], v[85:86], -v[144:145]
	v_add_f64 v[74:75], v[74:75], v[76:77]
	v_add_f64 v[156:157], v[56:57], v[201:202]
	v_mul_f64 v[114:115], v[114:115], s[38:39]
	v_add_f64 v[70:71], v[70:71], v[72:73]
	v_add_f64 v[72:73], v[106:107], -v[172:173]
	v_add_f64 v[78:79], v[81:82], v[78:79]
	v_fma_f64 v[211:212], v[110:111], s[16:17], v[207:208]
	v_add_f64 v[0:1], v[221:222], v[0:1]
	v_mul_f64 v[164:165], v[130:131], s[52:53]
	v_add_f64 v[87:88], v[52:53], v[156:157]
	v_add_f64 v[85:86], v[91:92], -v[168:169]
	v_add_f64 v[74:75], v[83:84], v[74:75]
	v_mul_f64 v[166:167], v[130:131], s[50:51]
	v_mul_f64 v[130:131], v[130:131], s[42:43]
	v_fma_f64 v[80:81], v[89:90], s[30:31], -v[114:115]
	v_add_f64 v[68:69], v[68:69], v[70:71]
	v_add_f64 v[70:71], v[108:109], -v[170:171]
	v_add_f64 v[76:77], v[48:49], v[87:88]
	v_add_f64 v[72:73], v[72:73], v[78:79]
	;; [unrolled: 1-line block ×3, first 2 shown]
	v_fma_f64 v[215:216], v[89:90], s[30:31], v[114:115]
	v_add_f64 v[0:1], v[219:220], v[0:1]
	v_mul_f64 v[160:161], v[138:139], s[28:29]
	v_add_f64 v[82:83], v[112:113], -v[164:165]
	v_add_f64 v[74:75], v[85:86], v[74:75]
	v_add_f64 v[76:77], v[44:45], v[76:77]
	v_mul_f64 v[162:163], v[138:139], s[38:39]
	v_mul_f64 v[138:139], v[138:139], s[14:15]
	v_fma_f64 v[78:79], v[110:111], s[8:9], -v[130:131]
	v_add_f64 v[68:69], v[80:81], v[68:69]
	v_add_f64 v[80:81], v[116:117], -v[166:167]
	v_add_f64 v[70:71], v[70:71], v[72:73]
	v_add_f64 v[209:210], v[213:214], v[209:210]
	;; [unrolled: 1-line block ×3, first 2 shown]
	v_fma_f64 v[213:214], v[110:111], s[8:9], v[130:131]
	v_add_f64 v[0:1], v[215:216], v[0:1]
	v_mul_f64 v[154:155], v[140:141], s[40:41]
	v_add_f64 v[84:85], v[120:121], -v[160:161]
	v_add_f64 v[74:75], v[82:83], v[74:75]
	v_mul_f64 v[158:159], v[140:141], s[54:55]
	v_mul_f64 v[207:208], v[140:141], s[48:49]
	v_add_f64 v[76:77], v[36:37], v[76:77]
	v_mul_f64 v[140:141], v[140:141], s[20:21]
	v_fma_f64 v[72:73], v[118:119], s[0:1], -v[138:139]
	v_add_f64 v[68:69], v[78:79], v[68:69]
	v_add_f64 v[78:79], v[122:123], -v[162:163]
	v_add_f64 v[70:71], v[80:81], v[70:71]
	v_fma_f64 v[211:212], v[118:119], s[0:1], v[138:139]
	v_add_f64 v[0:1], v[213:214], v[0:1]
	v_add_f64 v[82:83], v[128:129], -v[154:155]
	v_add_f64 v[74:75], v[84:85], v[74:75]
	v_add_f64 v[76:77], v[32:33], v[76:77]
	v_mul_f64 v[181:182], v[142:143], s[46:47]
	v_mul_f64 v[195:196], v[142:143], s[42:43]
	v_mul_f64 v[142:143], v[142:143], s[40:41]
	v_fma_f64 v[80:81], v[124:125], s[6:7], -v[140:141]
	v_add_f64 v[68:69], v[72:73], v[68:69]
	v_add_f64 v[72:73], v[132:133], -v[158:159]
	v_add_f64 v[70:71], v[78:79], v[70:71]
	v_add_f64 v[189:190], v[197:198], v[189:190]
	v_fma_f64 v[197:198], v[124:125], s[22:23], v[207:208]
	v_fma_f64 v[207:208], v[124:125], s[22:23], -v[207:208]
	v_fma_f64 v[203:204], v[124:125], s[6:7], v[140:141]
	v_add_f64 v[0:1], v[211:212], v[0:1]
	v_add_f64 v[84:85], v[134:135], -v[146:147]
	v_add_f64 v[74:75], v[82:83], v[74:75]
	v_add_f64 v[76:77], v[28:29], v[76:77]
	v_fma_f64 v[78:79], v[126:127], s[18:19], -v[142:143]
	v_add_f64 v[68:69], v[80:81], v[68:69]
	v_add_f64 v[80:81], v[136:137], -v[181:182]
	v_add_f64 v[70:71], v[72:73], v[70:71]
	v_fma_f64 v[193:194], v[126:127], s[8:9], v[195:196]
	v_fma_f64 v[195:196], v[126:127], s[8:9], -v[195:196]
	v_add_f64 v[72:73], v[207:208], v[191:192]
	v_add_f64 v[82:83], v[197:198], v[209:210]
	v_fma_f64 v[86:87], v[126:127], s[18:19], v[142:143]
	v_add_f64 v[0:1], v[203:204], v[0:1]
	v_add_f64 v[74:75], v[84:85], v[74:75]
	;; [unrolled: 1-line block ×8, first 2 shown]
	v_mul_u32_u24_e32 v82, 0x88, v101
	v_add_f64 v[0:1], v[86:87], v[0:1]
	v_add3_u32 v82, 0, v82, v174
	ds_write2_b64 v82, v[76:77], v[74:75] offset1:1
	ds_write2_b64 v82, v[70:71], v[68:69] offset0:2 offset1:3
	ds_write2_b64 v82, v[72:73], v[189:190] offset0:4 offset1:5
	;; [unrolled: 1-line block ×7, first 2 shown]
	ds_write_b64 v82, v[104:105] offset:128
.LBB0_14:
	s_or_b64 exec, exec, s[34:35]
	v_lshlrev_b32_e32 v0, 3, v101
	v_add_u32_e32 v158, 0, v0
	v_add_u32_e32 v156, v158, v174
	v_add3_u32 v157, 0, v174, v0
	v_add_u32_e32 v0, 0x800, v156
	s_waitcnt lgkmcnt(0)
	s_barrier
	ds_read2_b64 v[88:91], v0 offset0:16 offset1:101
	v_add_u32_e32 v0, 0xc00, v156
	ds_read2_b64 v[72:75], v0 offset0:58 offset1:160
	v_add_u32_e32 v0, 0x1800, v156
	;; [unrolled: 2-line block ×3, first 2 shown]
	ds_read_b64 v[106:107], v157
	ds_read2_b64 v[76:79], v0 offset0:90 offset1:192
	ds_read2_b64 v[68:71], v156 offset0:85 offset1:170
	v_add_u32_e32 v0, 0x1000, v156
	ds_read2_b64 v[84:87], v0 offset0:117 offset1:202
	v_add_u32_e32 v0, 0x2000, v156
	ds_read2_b64 v[80:83], v0 offset0:149 offset1:234
	v_cmp_gt_u32_e64 s[0:1], 17, v101
                                        ; implicit-def: $vgpr108_vgpr109
                                        ; implicit-def: $vgpr110_vgpr111
                                        ; implicit-def: $vgpr112_vgpr113
	s_and_saveexec_b64 s[6:7], s[0:1]
	s_cbranch_execz .LBB0_16
; %bb.15:
	ds_read_b64 v[102:103], v156 offset:2040
	ds_read_b64 v[104:105], v156 offset:4216
	;; [unrolled: 1-line block ×5, first 2 shown]
.LBB0_16:
	s_or_b64 exec, exec, s[6:7]
	v_add_f64 v[154:155], v[12:13], -v[16:17]
	s_mov_b32 s20, 0x5d8e7cdc
	s_mov_b32 s34, 0x2a9d6da3
	;; [unrolled: 1-line block ×4, first 2 shown]
	v_add_f64 v[132:133], v[14:15], v[18:19]
	v_add_f64 v[152:153], v[20:21], -v[28:29]
	s_mov_b32 s16, 0x370991
	v_mul_f64 v[142:143], v[154:155], s[20:21]
	v_mul_f64 v[144:145], v[154:155], s[34:35]
	s_mov_b32 s30, 0xeb564b22
	s_mov_b32 s17, 0x3fedd6d0
	;; [unrolled: 1-line block ×3, first 2 shown]
	v_add_f64 v[136:137], v[22:23], v[30:31]
	v_mul_f64 v[140:141], v[152:153], s[34:35]
	v_add_f64 v[126:127], v[24:25], -v[32:33]
	v_fma_f64 v[0:1], v[132:133], s[16:17], -v[142:143]
	v_mul_f64 v[148:149], v[152:153], s[30:31]
	v_fma_f64 v[12:13], v[132:133], s[8:9], -v[144:145]
	s_mov_b32 s46, 0x7c9e640b
	s_mov_b32 s6, 0x3259b75e
	;; [unrolled: 1-line block ×6, first 2 shown]
	v_add_f64 v[124:125], v[26:27], v[34:35]
	v_fma_f64 v[16:17], v[136:137], s[8:9], -v[140:141]
	v_add_f64 v[0:1], v[0:1], v[2:3]
	v_mul_f64 v[146:147], v[126:127], s[46:47]
	v_add_f64 v[122:123], v[8:9], -v[36:37]
	v_fma_f64 v[8:9], v[136:137], s[6:7], -v[148:149]
	v_add_f64 v[12:13], v[12:13], v[2:3]
	v_mul_f64 v[150:151], v[126:127], s[22:23]
	s_mov_b32 s14, 0x2b2883cd
	s_mov_b32 s18, 0x6ed5f1bb
	;; [unrolled: 1-line block ×6, first 2 shown]
	v_add_f64 v[0:1], v[16:17], v[0:1]
	v_fma_f64 v[16:17], v[124:125], s[14:15], -v[146:147]
	v_add_f64 v[120:121], v[10:11], v[38:39]
	v_mul_f64 v[134:135], v[122:123], s[30:31]
	v_add_f64 v[8:9], v[8:9], v[12:13]
	v_fma_f64 v[12:13], v[124:125], s[18:19], -v[150:151]
	v_mul_f64 v[138:139], v[122:123], s[40:41]
	v_add_f64 v[116:117], v[4:5], -v[40:41]
	s_mov_b32 s42, 0x7faef3
	s_mov_b32 s24, 0x923c349f
	;; [unrolled: 1-line block ×6, first 2 shown]
	v_add_f64 v[0:1], v[16:17], v[0:1]
	v_fma_f64 v[16:17], v[120:121], s[6:7], -v[134:135]
	v_add_f64 v[8:9], v[12:13], v[8:9]
	v_fma_f64 v[4:5], v[120:121], s[42:43], -v[138:139]
	v_add_f64 v[114:115], v[6:7], v[42:43]
	v_mul_f64 v[128:129], v[116:117], s[24:25]
	v_mul_f64 v[130:131], v[116:117], s[52:53]
	v_add_f64 v[36:37], v[64:65], -v[44:45]
	s_mov_b32 s28, 0xc61f0d01
	s_mov_b32 s36, 0x910ea3b9
	;; [unrolled: 1-line block ×6, first 2 shown]
	v_add_f64 v[0:1], v[16:17], v[0:1]
	v_add_f64 v[4:5], v[4:5], v[8:9]
	v_fma_f64 v[8:9], v[114:115], s[28:29], -v[128:129]
	v_fma_f64 v[16:17], v[114:115], s[36:37], -v[130:131]
	v_add_f64 v[24:25], v[46:47], v[66:67]
	v_mul_f64 v[118:119], v[36:37], s[22:23]
	v_mul_f64 v[64:65], v[36:37], s[48:49]
	v_add_f64 v[12:13], v[60:61], -v[48:49]
	s_mov_b32 s45, 0xbfe0d888
	s_mov_b32 s44, s52
	;; [unrolled: 1-line block ×4, first 2 shown]
	v_add_f64 v[0:1], v[8:9], v[0:1]
	v_add_f64 v[16:17], v[16:17], v[4:5]
	v_fma_f64 v[20:21], v[24:25], s[18:19], -v[118:119]
	v_fma_f64 v[28:29], v[24:25], s[28:29], -v[64:65]
	v_add_f64 v[8:9], v[62:63], v[50:51]
	v_mul_f64 v[40:41], v[12:13], s[44:45]
	v_mul_f64 v[44:45], v[12:13], s[38:39]
	v_add_f64 v[4:5], v[56:57], -v[52:53]
	s_mov_b32 s51, 0x3fd71e95
	s_mov_b32 s50, s20
	v_add_f64 v[32:33], v[20:21], v[0:1]
	v_add_f64 v[28:29], v[28:29], v[16:17]
	v_add_f64 v[0:1], v[58:59], v[54:55]
	v_fma_f64 v[48:49], v[8:9], s[36:37], -v[40:41]
	v_fma_f64 v[52:53], v[8:9], s[14:15], -v[44:45]
	v_mul_f64 v[16:17], v[4:5], s[40:41]
	v_mul_f64 v[20:21], v[4:5], s[50:51]
	s_waitcnt lgkmcnt(0)
	s_barrier
	v_add_f64 v[32:33], v[48:49], v[32:33]
	v_add_f64 v[28:29], v[52:53], v[28:29]
	v_fma_f64 v[48:49], v[0:1], s[42:43], -v[16:17]
	v_fma_f64 v[52:53], v[0:1], s[16:17], -v[20:21]
	v_add_f64 v[32:33], v[48:49], v[32:33]
	v_add_f64 v[28:29], v[52:53], v[28:29]
	s_and_saveexec_b64 s[26:27], s[2:3]
	s_cbranch_execz .LBB0_18
; %bb.17:
	v_add_f64 v[14:15], v[14:15], v[2:3]
	v_mul_f64 v[48:49], v[132:133], s[16:17]
	v_mul_f64 v[52:53], v[132:133], s[8:9]
	v_mul_f64 v[181:182], v[154:155], s[46:47]
	v_mul_f64 v[56:57], v[136:137], s[8:9]
	v_mul_f64 v[60:61], v[136:137], s[6:7]
	v_mul_f64 v[183:184], v[154:155], s[30:31]
	v_mul_f64 v[185:186], v[154:155], s[24:25]
	v_add_f64 v[14:15], v[22:23], v[14:15]
	v_mul_f64 v[187:188], v[154:155], s[22:23]
	v_mul_f64 v[189:190], v[154:155], s[44:45]
	v_add_f64 v[48:49], v[48:49], v[142:143]
	v_add_f64 v[52:53], v[52:53], v[144:145]
	v_fma_f64 v[142:143], v[132:133], s[14:15], v[181:182]
	v_fma_f64 v[144:145], v[132:133], s[14:15], -v[181:182]
	v_mul_f64 v[193:194], v[152:153], s[52:53]
	v_add_f64 v[14:15], v[26:27], v[14:15]
	s_mov_b32 s53, 0x3fc7851a
	s_mov_b32 s52, s40
	v_mul_f64 v[159:160], v[124:125], s[14:15]
	v_mul_f64 v[161:162], v[124:125], s[18:19]
	;; [unrolled: 1-line block ×5, first 2 shown]
	v_add_f64 v[10:11], v[10:11], v[14:15]
	v_mul_f64 v[14:15], v[154:155], s[40:41]
	v_mul_f64 v[154:155], v[152:153], s[22:23]
	;; [unrolled: 1-line block ×3, first 2 shown]
	v_fma_f64 v[181:182], v[132:133], s[6:7], v[183:184]
	v_fma_f64 v[205:206], v[132:133], s[18:19], v[187:188]
	v_fma_f64 v[187:188], v[132:133], s[18:19], -v[187:188]
	v_fma_f64 v[207:208], v[132:133], s[36:37], v[189:190]
	v_add_f64 v[6:7], v[6:7], v[10:11]
	v_fma_f64 v[189:190], v[132:133], s[36:37], -v[189:190]
	v_add_f64 v[56:57], v[56:57], v[140:141]
	v_add_f64 v[60:61], v[60:61], v[148:149]
	v_fma_f64 v[140:141], v[136:137], s[18:19], -v[154:155]
	v_add_f64 v[48:49], v[48:49], v[2:3]
	v_add_f64 v[52:53], v[52:53], v[2:3]
	;; [unrolled: 1-line block ×4, first 2 shown]
	v_mul_f64 v[66:67], v[126:127], s[52:53]
	v_add_f64 v[144:145], v[144:145], v[2:3]
	s_mov_b32 s3, 0x3fe58eea
	s_mov_b32 s2, s34
	v_mul_f64 v[199:200], v[126:127], s[20:21]
	v_mul_f64 v[203:204], v[126:127], s[2:3]
	v_fma_f64 v[148:149], v[136:137], s[42:43], v[191:192]
	v_add_f64 v[6:7], v[62:63], v[6:7]
	v_fma_f64 v[62:63], v[132:133], s[6:7], -v[183:184]
	v_fma_f64 v[183:184], v[132:133], s[28:29], v[185:186]
	v_fma_f64 v[185:186], v[132:133], s[28:29], -v[185:186]
	v_add_f64 v[146:147], v[159:160], v[146:147]
	v_add_f64 v[150:151], v[161:162], v[150:151]
	v_fma_f64 v[159:160], v[124:125], s[42:43], v[66:67]
	v_add_f64 v[161:162], v[181:182], v[2:3]
	v_add_f64 v[6:7], v[58:59], v[6:7]
	v_fma_f64 v[58:59], v[132:133], s[42:43], v[14:15]
	v_fma_f64 v[14:15], v[132:133], s[42:43], -v[14:15]
	v_fma_f64 v[132:133], v[136:137], s[18:19], v[154:155]
	v_fma_f64 v[154:155], v[136:137], s[36:37], v[193:194]
	v_add_f64 v[181:182], v[185:186], v[2:3]
	v_add_f64 v[185:186], v[187:188], v[2:3]
	;; [unrolled: 1-line block ×4, first 2 shown]
	v_fma_f64 v[54:55], v[136:137], s[42:43], -v[191:192]
	v_fma_f64 v[191:192], v[136:137], s[36:37], -v[193:194]
	v_fma_f64 v[193:194], v[136:137], s[28:29], v[195:196]
	v_add_f64 v[189:190], v[189:190], v[2:3]
	v_mul_f64 v[10:11], v[126:127], s[48:49]
	v_mul_f64 v[22:23], v[120:121], s[42:43]
	;; [unrolled: 1-line block ×3, first 2 shown]
	v_add_f64 v[6:7], v[50:51], v[6:7]
	v_fma_f64 v[50:51], v[136:137], s[16:17], v[152:153]
	v_fma_f64 v[195:196], v[136:137], s[28:29], -v[195:196]
	v_fma_f64 v[209:210], v[136:137], s[14:15], v[197:198]
	v_fma_f64 v[197:198], v[136:137], s[14:15], -v[197:198]
	v_fma_f64 v[136:137], v[136:137], s[16:17], -v[152:153]
	v_fma_f64 v[152:153], v[124:125], s[28:29], v[10:11]
	v_fma_f64 v[10:11], v[124:125], s[28:29], -v[10:11]
	v_add_f64 v[6:7], v[46:47], v[6:7]
	v_fma_f64 v[46:47], v[124:125], s[42:43], -v[66:67]
	v_fma_f64 v[66:67], v[124:125], s[8:9], v[203:204]
	v_mul_f64 v[163:164], v[120:121], s[6:7]
	v_add_f64 v[22:23], v[22:23], v[138:139]
	v_mul_f64 v[165:166], v[114:115], s[28:29]
	v_mul_f64 v[167:168], v[114:115], s[36:37]
	;; [unrolled: 1-line block ×3, first 2 shown]
	v_add_f64 v[6:7], v[42:43], v[6:7]
	v_add_f64 v[42:43], v[62:63], v[2:3]
	;; [unrolled: 1-line block ×4, first 2 shown]
	v_mul_f64 v[171:172], v[24:25], s[28:29]
	v_mul_f64 v[175:176], v[8:9], s[36:37]
	;; [unrolled: 1-line block ×4, first 2 shown]
	v_add_f64 v[6:7], v[38:39], v[6:7]
	v_add_f64 v[38:39], v[58:59], v[2:3]
	;; [unrolled: 1-line block ×15, first 2 shown]
	v_mul_f64 v[56:57], v[126:127], s[44:45]
	v_add_f64 v[6:7], v[30:31], v[6:7]
	v_add_f64 v[30:31], v[50:51], v[38:39]
	v_add_f64 v[38:39], v[150:151], v[48:49]
	v_add_f64 v[48:49], v[159:160], v[52:53]
	v_fma_f64 v[52:53], v[124:125], s[16:17], v[199:200]
	v_add_f64 v[140:141], v[197:198], v[189:190]
	v_add_f64 v[2:3], v[136:137], v[2:3]
	v_add_f64 v[50:51], v[152:153], v[58:59]
	v_add_f64 v[6:7], v[18:19], v[6:7]
	v_fma_f64 v[18:19], v[124:125], s[8:9], -v[203:204]
	v_add_f64 v[10:11], v[10:11], v[34:35]
	v_fma_f64 v[34:35], v[124:125], s[16:17], -v[199:200]
	v_add_f64 v[52:53], v[52:53], v[60:61]
	v_fma_f64 v[60:61], v[124:125], s[36:37], v[56:57]
	v_fma_f64 v[58:59], v[124:125], s[6:7], v[201:202]
	v_add_f64 v[42:43], v[66:67], v[42:43]
	v_fma_f64 v[66:67], v[124:125], s[6:7], -v[201:202]
	v_add_f64 v[18:19], v[18:19], v[54:55]
	v_mul_f64 v[54:55], v[122:123], s[48:49]
	v_fma_f64 v[56:57], v[124:125], s[36:37], -v[56:57]
	v_add_f64 v[14:15], v[146:147], v[14:15]
	v_add_f64 v[30:31], v[60:61], v[30:31]
	v_mul_f64 v[60:61], v[122:123], s[50:51]
	v_add_f64 v[34:35], v[34:35], v[62:63]
	v_add_f64 v[62:63], v[66:67], v[140:141]
	;; [unrolled: 1-line block ×3, first 2 shown]
	v_fma_f64 v[124:125], v[120:121], s[28:29], v[54:55]
	v_fma_f64 v[54:55], v[120:121], s[28:29], -v[54:55]
	v_add_f64 v[2:3], v[56:57], v[2:3]
	v_mul_f64 v[56:57], v[122:123], s[46:47]
	v_add_f64 v[22:23], v[22:23], v[38:39]
	s_mov_b32 s49, 0x3fe9895b
	s_mov_b32 s48, s22
	v_add_f64 v[132:133], v[209:210], v[187:188]
	v_add_f64 v[38:39], v[124:125], v[48:49]
	;; [unrolled: 1-line block ×3, first 2 shown]
	v_mul_f64 v[48:49], v[122:123], s[44:45]
	v_fma_f64 v[54:55], v[120:121], s[16:17], v[60:61]
	v_add_f64 v[14:15], v[66:67], v[14:15]
	v_fma_f64 v[60:61], v[120:121], s[16:17], -v[60:61]
	v_fma_f64 v[66:67], v[120:121], s[14:15], v[56:57]
	v_fma_f64 v[56:57], v[120:121], s[14:15], -v[56:57]
	v_mul_f64 v[124:125], v[122:123], s[48:49]
	v_add_f64 v[58:59], v[58:59], v[132:133]
	v_fma_f64 v[126:127], v[120:121], s[36:37], v[48:49]
	v_add_f64 v[50:51], v[54:55], v[50:51]
	v_fma_f64 v[48:49], v[120:121], s[36:37], -v[48:49]
	v_mul_f64 v[54:55], v[122:123], s[2:3]
	v_add_f64 v[10:11], v[60:61], v[10:11]
	v_add_f64 v[18:19], v[56:57], v[18:19]
	v_fma_f64 v[56:57], v[120:121], s[18:19], v[124:125]
	v_fma_f64 v[60:61], v[120:121], s[18:19], -v[124:125]
	v_add_f64 v[42:43], v[66:67], v[42:43]
	v_add_f64 v[66:67], v[165:166], v[128:129]
	;; [unrolled: 1-line block ×3, first 2 shown]
	v_fma_f64 v[48:49], v[120:121], s[8:9], v[54:55]
	v_fma_f64 v[54:55], v[120:121], s[8:9], -v[54:55]
	v_mul_f64 v[120:121], v[116:117], s[2:3]
	v_add_f64 v[56:57], v[56:57], v[58:59]
	v_add_f64 v[58:59], v[167:168], v[130:131]
	;; [unrolled: 1-line block ×3, first 2 shown]
	v_mul_f64 v[62:63], v[116:117], s[46:47]
	v_add_f64 v[14:15], v[66:67], v[14:15]
	v_add_f64 v[30:31], v[48:49], v[30:31]
	;; [unrolled: 1-line block ×3, first 2 shown]
	v_fma_f64 v[48:49], v[114:115], s[8:9], v[120:121]
	v_fma_f64 v[54:55], v[114:115], s[8:9], -v[120:121]
	v_add_f64 v[22:23], v[58:59], v[22:23]
	v_mul_f64 v[58:59], v[116:117], s[40:41]
	v_fma_f64 v[66:67], v[114:115], s[14:15], v[62:63]
	s_mov_b32 s47, 0x3fefdd0d
	s_mov_b32 s46, s30
	v_mul_f64 v[120:121], v[116:117], s[46:47]
	v_add_f64 v[38:39], v[48:49], v[38:39]
	v_fma_f64 v[48:49], v[114:115], s[14:15], -v[62:63]
	v_mul_f64 v[62:63], v[116:117], s[20:21]
	v_add_f64 v[46:47], v[54:55], v[46:47]
	v_fma_f64 v[54:55], v[114:115], s[42:43], v[58:59]
	v_fma_f64 v[58:59], v[114:115], s[42:43], -v[58:59]
	v_mul_f64 v[116:117], v[116:117], s[22:23]
	v_add_f64 v[52:53], v[126:127], v[52:53]
	v_add_f64 v[50:51], v[66:67], v[50:51]
	;; [unrolled: 1-line block ×3, first 2 shown]
	v_fma_f64 v[48:49], v[114:115], s[16:17], v[62:63]
	v_fma_f64 v[66:67], v[114:115], s[6:7], v[120:121]
	v_add_f64 v[42:43], v[54:55], v[42:43]
	v_add_f64 v[18:19], v[58:59], v[18:19]
	v_fma_f64 v[54:55], v[114:115], s[16:17], -v[62:63]
	v_fma_f64 v[58:59], v[114:115], s[18:19], v[116:117]
	v_mul_f64 v[62:63], v[36:37], s[20:21]
	v_add_f64 v[64:65], v[171:172], v[64:65]
	v_add_f64 v[48:49], v[48:49], v[56:57]
	;; [unrolled: 1-line block ×4, first 2 shown]
	v_fma_f64 v[66:67], v[114:115], s[18:19], -v[116:117]
	v_add_f64 v[54:55], v[54:55], v[60:61]
	v_mul_f64 v[60:61], v[36:37], s[44:45]
	v_add_f64 v[30:31], v[58:59], v[30:31]
	v_fma_f64 v[58:59], v[24:25], s[16:17], v[62:63]
	v_fma_f64 v[62:63], v[24:25], s[16:17], -v[62:63]
	v_add_f64 v[14:15], v[56:57], v[14:15]
	v_mul_f64 v[56:57], v[36:37], s[46:47]
	v_fma_f64 v[120:121], v[114:115], s[6:7], -v[120:121]
	v_add_f64 v[2:3], v[66:67], v[2:3]
	v_fma_f64 v[66:67], v[24:25], s[36:37], v[60:61]
	v_add_f64 v[22:23], v[64:65], v[22:23]
	v_mul_f64 v[64:65], v[36:37], s[34:35]
	v_add_f64 v[38:39], v[58:59], v[38:39]
	v_fma_f64 v[58:59], v[24:25], s[36:37], -v[60:61]
	v_add_f64 v[46:47], v[62:63], v[46:47]
	v_mul_f64 v[60:61], v[36:37], s[40:41]
	v_fma_f64 v[62:63], v[24:25], s[6:7], v[56:57]
	v_fma_f64 v[56:57], v[24:25], s[6:7], -v[56:57]
	v_mul_f64 v[36:37], v[36:37], s[38:39]
	v_add_f64 v[34:35], v[120:121], v[34:35]
	v_add_f64 v[50:51], v[66:67], v[50:51]
	v_fma_f64 v[66:67], v[24:25], s[8:9], v[64:65]
	v_add_f64 v[10:11], v[58:59], v[10:11]
	v_fma_f64 v[58:59], v[24:25], s[8:9], -v[64:65]
	v_fma_f64 v[64:65], v[24:25], s[42:43], v[60:61]
	v_add_f64 v[42:43], v[62:63], v[42:43]
	v_fma_f64 v[60:61], v[24:25], s[42:43], -v[60:61]
	v_add_f64 v[18:19], v[56:57], v[18:19]
	v_fma_f64 v[56:57], v[24:25], s[14:15], v[36:37]
	v_mul_f64 v[62:63], v[12:13], s[30:31]
	v_fma_f64 v[24:25], v[24:25], s[14:15], -v[36:37]
	v_add_f64 v[40:41], v[175:176], v[40:41]
	v_add_f64 v[34:35], v[58:59], v[34:35]
	;; [unrolled: 1-line block ×6, first 2 shown]
	v_fma_f64 v[54:55], v[8:9], s[6:7], v[62:63]
	v_mul_f64 v[56:57], v[12:13], s[48:49]
	v_fma_f64 v[58:59], v[8:9], s[6:7], -v[62:63]
	v_add_f64 v[2:3], v[24:25], v[2:3]
	v_mul_f64 v[24:25], v[12:13], s[20:21]
	v_add_f64 v[14:15], v[40:41], v[14:15]
	v_mul_f64 v[40:41], v[12:13], s[40:41]
	v_add_f64 v[22:23], v[44:45], v[22:23]
	v_add_f64 v[38:39], v[54:55], v[38:39]
	v_fma_f64 v[44:45], v[8:9], s[18:19], v[56:57]
	v_add_f64 v[46:47], v[58:59], v[46:47]
	v_fma_f64 v[54:55], v[8:9], s[18:19], -v[56:57]
	v_fma_f64 v[56:57], v[8:9], s[16:17], v[24:25]
	v_mul_f64 v[58:59], v[12:13], s[2:3]
	v_fma_f64 v[24:25], v[8:9], s[16:17], -v[24:25]
	v_fma_f64 v[60:61], v[8:9], s[42:43], v[40:41]
	v_fma_f64 v[40:41], v[8:9], s[42:43], -v[40:41]
	v_mul_f64 v[12:13], v[12:13], s[24:25]
	v_mul_f64 v[179:180], v[0:1], s[16:17]
	v_add_f64 v[44:45], v[44:45], v[50:51]
	v_add_f64 v[10:11], v[54:55], v[10:11]
	v_fma_f64 v[50:51], v[8:9], s[8:9], v[58:59]
	v_add_f64 v[18:19], v[24:25], v[18:19]
	v_add_f64 v[24:25], v[60:61], v[52:53]
	;; [unrolled: 1-line block ×3, first 2 shown]
	v_fma_f64 v[40:41], v[8:9], s[8:9], -v[58:59]
	v_fma_f64 v[52:53], v[8:9], s[28:29], v[12:13]
	v_mul_f64 v[54:55], v[4:5], s[44:45]
	v_fma_f64 v[8:9], v[8:9], s[28:29], -v[12:13]
	v_add_f64 v[16:17], v[26:27], v[16:17]
	v_add_f64 v[20:21], v[179:180], v[20:21]
	v_mul_f64 v[26:27], v[4:5], s[2:3]
	v_add_f64 v[48:49], v[64:65], v[48:49]
	v_add_f64 v[36:37], v[40:41], v[36:37]
	;; [unrolled: 1-line block ×3, first 2 shown]
	v_fma_f64 v[40:41], v[0:1], s[36:37], v[54:55]
	v_add_f64 v[2:3], v[8:9], v[2:3]
	v_fma_f64 v[8:9], v[0:1], s[36:37], -v[54:55]
	v_add_f64 v[14:15], v[16:17], v[14:15]
	v_add_f64 v[16:17], v[20:21], v[22:23]
	v_fma_f64 v[20:21], v[0:1], s[8:9], v[26:27]
	v_fma_f64 v[22:23], v[0:1], s[8:9], -v[26:27]
	v_mul_f64 v[26:27], v[4:5], s[22:23]
	v_add_f64 v[38:39], v[40:41], v[38:39]
	v_mul_f64 v[40:41], v[4:5], s[38:39]
	v_add_f64 v[8:9], v[8:9], v[46:47]
	v_mul_f64 v[46:47], v[4:5], s[24:25]
	v_mul_f64 v[4:5], v[4:5], s[46:47]
	v_add_f64 v[12:13], v[50:51], v[48:49]
	v_add_f64 v[10:11], v[22:23], v[10:11]
	v_fma_f64 v[22:23], v[0:1], s[18:19], v[26:27]
	v_add_f64 v[20:21], v[20:21], v[44:45]
	v_fma_f64 v[44:45], v[0:1], s[14:15], v[40:41]
	v_add_f64 v[30:31], v[52:53], v[30:31]
	v_fma_f64 v[48:49], v[0:1], s[28:29], v[46:47]
	v_fma_f64 v[50:51], v[0:1], s[6:7], v[4:5]
	v_fma_f64 v[4:5], v[0:1], s[6:7], -v[4:5]
	v_fma_f64 v[26:27], v[0:1], s[18:19], -v[26:27]
	;; [unrolled: 1-line block ×4, first 2 shown]
	v_add_f64 v[22:23], v[22:23], v[42:43]
	v_add_f64 v[24:25], v[44:45], v[24:25]
	;; [unrolled: 1-line block ×8, first 2 shown]
	v_lshlrev_b32_e32 v4, 7, v101
	v_add3_u32 v4, v158, v4, v174
	ds_write2_b64 v4, v[6:7], v[14:15] offset1:1
	ds_write2_b64 v4, v[16:17], v[38:39] offset0:2 offset1:3
	ds_write2_b64 v4, v[20:21], v[22:23] offset0:4 offset1:5
	;; [unrolled: 1-line block ×7, first 2 shown]
	ds_write_b64 v4, v[32:33] offset:128
.LBB0_18:
	s_or_b64 exec, exec, s[26:27]
	v_add_u32_e32 v0, 0x800, v156
	s_waitcnt lgkmcnt(0)
	s_barrier
	ds_read2_b64 v[20:23], v0 offset0:16 offset1:101
	v_add_u32_e32 v0, 0xc00, v156
	ds_read2_b64 v[8:11], v0 offset0:58 offset1:160
	v_add_u32_e32 v0, 0x1800, v156
	ds_read2_b64 v[24:27], v0 offset0:48 offset1:133
	v_add_u32_e32 v0, 0x1c00, v156
	v_add_u32_e32 v12, 0x1000, v156
	ds_read_b64 v[30:31], v157
	ds_read2_b64 v[4:7], v0 offset0:90 offset1:192
	ds_read2_b64 v[0:3], v156 offset0:85 offset1:170
	;; [unrolled: 1-line block ×3, first 2 shown]
	v_add_u32_e32 v12, 0x2000, v156
	ds_read2_b64 v[12:15], v12 offset0:149 offset1:234
                                        ; implicit-def: $vgpr38_vgpr39
                                        ; implicit-def: $vgpr34_vgpr35
                                        ; implicit-def: $vgpr36_vgpr37
	s_and_saveexec_b64 s[2:3], s[0:1]
	s_cbranch_execz .LBB0_20
; %bb.19:
	ds_read_b64 v[28:29], v156 offset:2040
	ds_read_b64 v[32:33], v156 offset:4216
	;; [unrolled: 1-line block ×5, first 2 shown]
.LBB0_20:
	s_or_b64 exec, exec, s[2:3]
	s_movk_i32 s2, 0xf1
	v_mul_lo_u16_sdwa v40, v101, s2 dst_sel:DWORD dst_unused:UNUSED_PAD src0_sel:BYTE_0 src1_sel:DWORD
	v_lshrrev_b16_e32 v189, 12, v40
	v_mul_lo_u16_e32 v40, 17, v189
	v_sub_u16_e32 v190, v101, v40
	v_mov_b32_e32 v61, 6
	v_lshlrev_b32_sdwa v56, v61, v190 dst_sel:DWORD dst_unused:UNUSED_PAD src0_sel:DWORD src1_sel:BYTE_0
	global_load_dwordx4 v[40:43], v56, s[12:13] offset:48
	global_load_dwordx4 v[44:47], v56, s[12:13] offset:32
	;; [unrolled: 1-line block ×3, first 2 shown]
	global_load_dwordx4 v[52:55], v56, s[12:13]
	v_add_u16_e32 v56, 0x55, v101
	v_mul_lo_u16_sdwa v57, v56, s2 dst_sel:DWORD dst_unused:UNUSED_PAD src0_sel:BYTE_0 src1_sel:DWORD
	v_lshrrev_b16_e32 v191, 12, v57
	v_mul_lo_u16_e32 v57, 17, v191
	v_sub_u16_e32 v192, v56, v57
	v_lshlrev_b32_sdwa v62, v61, v192 dst_sel:DWORD dst_unused:UNUSED_PAD src0_sel:DWORD src1_sel:BYTE_0
	global_load_dwordx4 v[114:117], v62, s[12:13] offset:48
	global_load_dwordx4 v[118:121], v62, s[12:13] offset:32
	;; [unrolled: 1-line block ×3, first 2 shown]
	global_load_dwordx4 v[122:125], v62, s[12:13]
	v_add_u16_e32 v62, 0xaa, v101
	v_mul_lo_u16_sdwa v63, v62, s2 dst_sel:DWORD dst_unused:UNUSED_PAD src0_sel:BYTE_0 src1_sel:DWORD
	v_lshrrev_b16_e32 v193, 12, v63
	v_mul_lo_u16_e32 v63, 17, v193
	v_sub_u16_e32 v194, v62, v63
	v_lshlrev_b32_sdwa v61, v61, v194 dst_sel:DWORD dst_unused:UNUSED_PAD src0_sel:DWORD src1_sel:BYTE_0
	global_load_dwordx4 v[126:129], v61, s[12:13] offset:16
	global_load_dwordx4 v[130:133], v61, s[12:13]
	global_load_dwordx4 v[134:137], v61, s[12:13] offset:48
	global_load_dwordx4 v[138:141], v61, s[12:13] offset:32
	v_add_u32_e32 v60, 0xff, v101
	s_mov_b32 s2, 0xf0f1
	v_mul_u32_u24_sdwa v61, v60, s2 dst_sel:DWORD dst_unused:UNUSED_PAD src0_sel:WORD_0 src1_sel:DWORD
	v_lshrrev_b32_e32 v61, 20, v61
	v_mul_lo_u16_e32 v61, 17, v61
	v_sub_u16_e32 v195, v60, v61
	v_lshlrev_b32_e32 v60, 6, v195
	global_load_dwordx4 v[142:145], v60, s[12:13]
	global_load_dwordx4 v[146:149], v60, s[12:13] offset:16
	global_load_dwordx4 v[150:153], v60, s[12:13] offset:32
	;; [unrolled: 1-line block ×3, first 2 shown]
	s_mov_b32 s8, 0x134454ff
	s_mov_b32 s9, 0x3fee6f0e
	;; [unrolled: 1-line block ×10, first 2 shown]
	s_movk_i32 s18, 0x2a8
	s_waitcnt vmcnt(0) lgkmcnt(0)
	s_barrier
	v_mul_f64 v[154:155], v[6:7], v[42:43]
	v_mul_f64 v[64:65], v[24:25], v[46:47]
	;; [unrolled: 1-line block ×8, first 2 shown]
	v_fma_f64 v[78:79], v[78:79], v[40:41], -v[154:155]
	v_mul_f64 v[164:165], v[16:17], v[58:59]
	v_fma_f64 v[74:75], v[74:75], v[48:49], -v[62:63]
	v_fma_f64 v[66:67], v[88:89], v[52:53], -v[60:61]
	;; [unrolled: 1-line block ×3, first 2 shown]
	v_fma_f64 v[60:61], v[20:21], v[52:53], v[54:55]
	v_fma_f64 v[52:53], v[6:7], v[40:41], v[42:43]
	v_mul_f64 v[172:173], v[8:9], v[132:133]
	v_mul_f64 v[132:133], v[72:73], v[132:133]
	;; [unrolled: 1-line block ×6, first 2 shown]
	v_add_f64 v[40:41], v[106:107], v[66:67]
	v_add_f64 v[42:43], v[74:75], v[88:89]
	v_mul_f64 v[162:163], v[22:23], v[124:125]
	v_mul_f64 v[124:125], v[90:91], v[124:125]
	;; [unrolled: 1-line block ×9, first 2 shown]
	v_fma_f64 v[62:63], v[10:11], v[48:49], v[50:51]
	v_fma_f64 v[58:59], v[24:25], v[44:45], v[46:47]
	v_fma_f64 v[20:21], v[72:73], v[130:131], -v[172:173]
	v_fma_f64 v[6:7], v[8:9], v[130:131], v[132:133]
	v_fma_f64 v[8:9], v[4:5], v[138:139], v[140:141]
	;; [unrolled: 1-line block ×3, first 2 shown]
	v_add_f64 v[14:15], v[60:61], -v[52:53]
	v_add_f64 v[48:49], v[40:41], v[74:75]
	v_fma_f64 v[72:73], v[42:43], -0.5, v[106:107]
	v_fma_f64 v[64:65], v[90:91], v[122:123], -v[162:163]
	v_fma_f64 v[44:45], v[22:23], v[122:123], v[124:125]
	v_fma_f64 v[54:55], v[84:85], v[56:57], -v[164:165]
	v_fma_f64 v[50:51], v[16:17], v[56:57], v[166:167]
	v_fma_f64 v[16:17], v[26:27], v[118:119], v[120:121]
	v_fma_f64 v[26:27], v[80:81], v[114:115], -v[170:171]
	v_fma_f64 v[22:23], v[12:13], v[114:115], v[116:117]
	v_fma_f64 v[12:13], v[86:87], v[126:127], -v[175:176]
	;; [unrolled: 2-line block ×3, first 2 shown]
	v_fma_f64 v[24:25], v[82:83], v[134:135], -v[179:180]
	v_add_f64 v[76:77], v[62:63], -v[58:59]
	v_add_f64 v[80:81], v[66:67], -v[74:75]
	;; [unrolled: 1-line block ×3, first 2 shown]
	v_add_f64 v[84:85], v[48:49], v[88:89]
	v_fma_f64 v[86:87], v[14:15], s[8:9], v[72:73]
	v_add_f64 v[90:91], v[66:67], v[78:79]
	v_fma_f64 v[56:57], v[94:95], v[118:119], -v[168:169]
	v_mul_f64 v[181:182], v[32:33], v[144:145]
	v_mul_f64 v[144:145], v[104:105], v[144:145]
	;; [unrolled: 1-line block ×3, first 2 shown]
	v_add_f64 v[80:81], v[80:81], v[82:83]
	v_add_f64 v[82:83], v[84:85], v[78:79]
	v_fma_f64 v[84:85], v[76:77], s[2:3], v[86:87]
	v_fma_f64 v[86:87], v[90:91], -0.5, v[106:107]
	v_add_f64 v[90:91], v[68:69], v[64:65]
	v_add_f64 v[92:93], v[54:55], v[56:57]
	v_fma_f64 v[46:47], v[104:105], v[142:143], -v[181:182]
	v_fma_f64 v[72:73], v[14:15], s[14:15], v[72:73]
	v_mul_f64 v[183:184], v[36:37], v[148:149]
	v_mul_f64 v[185:186], v[34:35], v[152:153]
	v_add_f64 v[94:95], v[44:45], -v[22:23]
	v_fma_f64 v[104:105], v[76:77], s[14:15], v[86:87]
	v_fma_f64 v[86:87], v[76:77], s[8:9], v[86:87]
	v_add_f64 v[90:91], v[90:91], v[54:55]
	v_fma_f64 v[92:93], v[92:93], -0.5, v[68:69]
	v_mul_f64 v[160:161], v[108:109], v[160:161]
	v_fma_f64 v[48:49], v[108:109], v[158:159], -v[187:188]
	v_add_f64 v[106:107], v[74:75], -v[66:67]
	v_add_f64 v[108:109], v[88:89], -v[78:79]
	v_fma_f64 v[72:73], v[76:77], s[16:17], v[72:73]
	v_fma_f64 v[104:105], v[14:15], s[2:3], v[104:105]
	v_fma_f64 v[14:15], v[14:15], s[16:17], v[86:87]
	v_add_f64 v[86:87], v[90:91], v[56:57]
	v_mul_f64 v[148:149], v[112:113], v[148:149]
	v_mul_f64 v[152:153], v[110:111], v[152:153]
	v_fma_f64 v[40:41], v[112:113], v[146:147], -v[183:184]
	v_fma_f64 v[42:43], v[110:111], v[150:151], -v[185:186]
	v_fma_f64 v[110:111], v[94:95], s[8:9], v[92:93]
	v_add_f64 v[112:113], v[50:51], -v[16:17]
	v_add_f64 v[114:115], v[64:65], -v[54:55]
	;; [unrolled: 1-line block ×3, first 2 shown]
	v_add_f64 v[76:77], v[64:65], v[26:27]
	v_add_f64 v[106:107], v[106:107], v[108:109]
	v_fma_f64 v[84:85], v[80:81], s[6:7], v[84:85]
	v_fma_f64 v[72:73], v[80:81], s[6:7], v[72:73]
	v_add_f64 v[80:81], v[86:87], v[26:27]
	v_add_f64 v[86:87], v[12:13], v[18:19]
	v_fma_f64 v[90:91], v[112:113], s[2:3], v[110:111]
	v_add_f64 v[110:111], v[20:21], v[24:25]
	v_add_f64 v[108:109], v[114:115], v[116:117]
	v_fma_f64 v[68:69], v[76:77], -0.5, v[68:69]
	v_fma_f64 v[76:77], v[106:107], s[6:7], v[104:105]
	v_fma_f64 v[14:15], v[106:107], s[6:7], v[14:15]
	;; [unrolled: 1-line block ×3, first 2 shown]
	v_add_f64 v[106:107], v[54:55], -v[64:65]
	v_add_f64 v[114:115], v[56:57], -v[26:27]
	v_add_f64 v[116:117], v[70:71], v[20:21]
	v_fma_f64 v[86:87], v[86:87], -0.5, v[70:71]
	v_add_f64 v[118:119], v[6:7], -v[4:5]
	v_add_f64 v[120:121], v[10:11], -v[8:9]
	v_fma_f64 v[70:71], v[110:111], -0.5, v[70:71]
	v_fma_f64 v[104:105], v[112:113], s[14:15], v[68:69]
	v_fma_f64 v[92:93], v[112:113], s[16:17], v[92:93]
	v_add_f64 v[106:107], v[106:107], v[114:115]
	v_fma_f64 v[68:69], v[112:113], s[8:9], v[68:69]
	v_add_f64 v[110:111], v[116:117], v[12:13]
	v_fma_f64 v[112:113], v[118:119], s[8:9], v[86:87]
	v_add_f64 v[114:115], v[20:21], -v[12:13]
	v_add_f64 v[116:117], v[24:25], -v[18:19]
	v_fma_f64 v[86:87], v[118:119], s[14:15], v[86:87]
	v_fma_f64 v[122:123], v[120:121], s[14:15], v[70:71]
	v_add_f64 v[124:125], v[12:13], -v[20:21]
	v_add_f64 v[126:127], v[18:19], -v[24:25]
	v_fma_f64 v[70:71], v[120:121], s[8:9], v[70:71]
	v_fma_f64 v[104:105], v[94:95], s[2:3], v[104:105]
	;; [unrolled: 1-line block ×3, first 2 shown]
	v_add_f64 v[94:95], v[110:111], v[18:19]
	v_fma_f64 v[110:111], v[120:121], s[2:3], v[112:113]
	v_add_f64 v[112:113], v[114:115], v[116:117]
	v_fma_f64 v[86:87], v[120:121], s[16:17], v[86:87]
	v_fma_f64 v[114:115], v[118:119], s[2:3], v[122:123]
	v_add_f64 v[116:117], v[124:125], v[126:127]
	v_fma_f64 v[70:71], v[118:119], s[16:17], v[70:71]
	v_fma_f64 v[32:33], v[32:33], v[142:143], v[144:145]
	;; [unrolled: 1-line block ×7, first 2 shown]
	v_add_f64 v[94:95], v[94:95], v[24:25]
	v_fma_f64 v[108:109], v[112:113], s[6:7], v[110:111]
	v_fma_f64 v[104:105], v[106:107], s[6:7], v[104:105]
	;; [unrolled: 1-line block ×6, first 2 shown]
	v_mov_b32_e32 v71, 3
	v_mad_u32_u24 v68, v189, s18, 0
	v_lshlrev_b32_sdwa v69, v71, v190 dst_sel:DWORD dst_unused:UNUSED_PAD src0_sel:DWORD src1_sel:BYTE_0
	v_add3_u32 v69, v68, v69, v174
	ds_write2_b64 v69, v[82:83], v[84:85] offset1:17
	ds_write2_b64 v69, v[76:77], v[14:15] offset0:34 offset1:51
	ds_write_b64 v69, v[72:73] offset:544
	v_mad_u32_u24 v14, v191, s18, 0
	v_lshlrev_b32_sdwa v15, v71, v192 dst_sel:DWORD dst_unused:UNUSED_PAD src0_sel:DWORD src1_sel:BYTE_0
	v_add3_u32 v70, v14, v15, v174
	v_mad_u32_u24 v14, v193, s18, 0
	v_lshlrev_b32_sdwa v15, v71, v194 dst_sel:DWORD dst_unused:UNUSED_PAD src0_sel:DWORD src1_sel:BYTE_0
	v_add3_u32 v71, v14, v15, v174
	v_lshlrev_b32_e32 v68, 3, v195
	ds_write2_b64 v70, v[80:81], v[90:91] offset1:17
	ds_write2_b64 v70, v[104:105], v[106:107] offset0:34 offset1:51
	ds_write_b64 v70, v[92:93] offset:544
	ds_write2_b64 v71, v[94:95], v[108:109] offset1:17
	ds_write2_b64 v71, v[110:111], v[112:113] offset0:34 offset1:51
	ds_write_b64 v71, v[86:87] offset:544
	s_and_saveexec_b64 s[18:19], s[0:1]
	s_cbranch_execz .LBB0_22
; %bb.21:
	v_add_f64 v[72:73], v[40:41], v[42:43]
	v_add_f64 v[14:15], v[46:47], v[48:49]
	v_add_f64 v[80:81], v[32:33], -v[38:39]
	v_add_f64 v[82:83], v[102:103], v[46:47]
	v_add_f64 v[76:77], v[36:37], -v[34:35]
	v_add_f64 v[84:85], v[40:41], -v[46:47]
	;; [unrolled: 1-line block ×4, first 2 shown]
	v_fma_f64 v[72:73], v[72:73], -0.5, v[102:103]
	v_fma_f64 v[14:15], v[14:15], -0.5, v[102:103]
	v_add_f64 v[92:93], v[48:49], -v[42:43]
	v_add_f64 v[82:83], v[82:83], v[40:41]
	v_add_f64 v[84:85], v[84:85], v[86:87]
	v_fma_f64 v[102:103], v[80:81], s[8:9], v[72:73]
	v_fma_f64 v[94:95], v[76:77], s[8:9], v[14:15]
	;; [unrolled: 1-line block ×4, first 2 shown]
	v_add_f64 v[86:87], v[90:91], v[92:93]
	v_add_f64 v[82:83], v[82:83], v[42:43]
	v_fma_f64 v[92:93], v[76:77], s[2:3], v[102:103]
	v_fma_f64 v[90:91], v[80:81], s[16:17], v[94:95]
	;; [unrolled: 1-line block ×4, first 2 shown]
	v_add_f64 v[76:77], v[82:83], v[48:49]
	v_fma_f64 v[82:83], v[86:87], s[6:7], v[92:93]
	v_fma_f64 v[80:81], v[84:85], s[6:7], v[90:91]
	;; [unrolled: 1-line block ×4, first 2 shown]
	v_add3_u32 v84, 0, v68, v174
	v_add_u32_e32 v85, 0x2400, v84
	v_add_u32_e32 v86, 0x2800, v84
	ds_write2_b64 v85, v[76:77], v[82:83] offset0:123 offset1:140
	ds_write2_b64 v86, v[14:15], v[80:81] offset0:29 offset1:46
	ds_write_b64 v84, v[72:73] offset:10744
.LBB0_22:
	s_or_b64 exec, exec, s[18:19]
	v_add_f64 v[14:15], v[30:31], v[60:61]
	v_add_f64 v[72:73], v[62:63], v[58:59]
	v_add_f64 v[66:67], v[66:67], -v[78:79]
	v_add_f64 v[78:79], v[60:61], v[52:53]
	v_add_f64 v[76:77], v[60:61], -v[62:63]
	v_add_f64 v[60:61], v[62:63], -v[60:61]
	;; [unrolled: 1-line block ×4, first 2 shown]
	v_add_f64 v[14:15], v[14:15], v[62:63]
	v_fma_f64 v[72:73], v[72:73], -0.5, v[30:31]
	v_add_f64 v[62:63], v[0:1], v[44:45]
	v_add_f64 v[84:85], v[58:59], -v[52:53]
	v_fma_f64 v[30:31], v[78:79], -0.5, v[30:31]
	v_add_f64 v[82:83], v[50:51], v[16:17]
	v_add_f64 v[26:27], v[64:65], -v[26:27]
	v_add_f64 v[76:77], v[76:77], v[80:81]
	v_add_f64 v[14:15], v[14:15], v[58:59]
	v_fma_f64 v[58:59], v[66:67], s[14:15], v[72:73]
	v_add_f64 v[62:63], v[62:63], v[50:51]
	v_fma_f64 v[72:73], v[66:67], s[8:9], v[72:73]
	v_fma_f64 v[78:79], v[74:75], s[8:9], v[30:31]
	v_fma_f64 v[30:31], v[74:75], s[14:15], v[30:31]
	v_fma_f64 v[64:65], v[82:83], -0.5, v[0:1]
	v_add_f64 v[54:55], v[54:55], -v[56:57]
	v_add_f64 v[52:53], v[14:15], v[52:53]
	v_fma_f64 v[14:15], v[74:75], s[16:17], v[58:59]
	v_add_f64 v[62:63], v[62:63], v[16:17]
	v_fma_f64 v[72:73], v[74:75], s[2:3], v[72:73]
	v_add_f64 v[74:75], v[44:45], v[22:23]
	v_add_f64 v[56:57], v[44:45], -v[50:51]
	v_fma_f64 v[78:79], v[66:67], s[16:17], v[78:79]
	v_add_f64 v[60:61], v[60:61], v[84:85]
	v_fma_f64 v[30:31], v[66:67], s[2:3], v[30:31]
	v_fma_f64 v[66:67], v[76:77], s[6:7], v[14:15]
	v_add_f64 v[14:15], v[10:11], v[8:9]
	v_add_f64 v[44:45], v[50:51], -v[44:45]
	v_add_f64 v[50:51], v[6:7], v[4:5]
	v_add_f64 v[80:81], v[22:23], -v[16:17]
	;; [unrolled: 2-line block ×3, first 2 shown]
	v_add_f64 v[22:23], v[2:3], v[6:7]
	v_fma_f64 v[0:1], v[74:75], -0.5, v[0:1]
	v_fma_f64 v[58:59], v[26:27], s[14:15], v[64:65]
	v_fma_f64 v[74:75], v[60:61], s[6:7], v[78:79]
	;; [unrolled: 1-line block ×4, first 2 shown]
	v_fma_f64 v[14:15], v[14:15], -0.5, v[2:3]
	v_add_f64 v[20:21], v[20:21], -v[24:25]
	v_add_f64 v[12:13], v[12:13], -v[18:19]
	v_fma_f64 v[2:3], v[50:51], -0.5, v[2:3]
	v_add_f64 v[18:19], v[22:23], v[10:11]
	v_fma_f64 v[64:65], v[54:55], s[8:9], v[0:1]
	v_fma_f64 v[0:1], v[54:55], s[14:15], v[0:1]
	;; [unrolled: 1-line block ×4, first 2 shown]
	v_add_f64 v[16:17], v[44:45], v[16:17]
	v_fma_f64 v[22:23], v[20:21], s[14:15], v[14:15]
	v_add_f64 v[44:45], v[6:7], -v[10:11]
	v_add_f64 v[50:51], v[4:5], -v[8:9]
	v_fma_f64 v[14:15], v[20:21], s[8:9], v[14:15]
	v_fma_f64 v[54:55], v[12:13], s[8:9], v[2:3]
	v_add_f64 v[6:7], v[10:11], -v[6:7]
	v_add_f64 v[10:11], v[8:9], -v[4:5]
	v_fma_f64 v[2:3], v[12:13], s[14:15], v[2:3]
	v_add_f64 v[8:9], v[18:19], v[8:9]
	v_add_f64 v[56:57], v[56:57], v[80:81]
	v_fma_f64 v[0:1], v[26:27], s[2:3], v[0:1]
	v_fma_f64 v[18:19], v[12:13], s[16:17], v[22:23]
	v_add_f64 v[22:23], v[44:45], v[50:51]
	v_fma_f64 v[12:13], v[12:13], s[2:3], v[14:15]
	v_fma_f64 v[14:15], v[20:21], s[16:17], v[54:55]
	;; [unrolled: 3-line block ×3, first 2 shown]
	v_add_f64 v[64:65], v[8:9], v[4:5]
	v_add_u32_e32 v8, 0x1400, v156
	v_fma_f64 v[58:59], v[56:57], s[6:7], v[58:59]
	v_fma_f64 v[50:51], v[56:57], s[6:7], v[24:25]
	;; [unrolled: 1-line block ×3, first 2 shown]
	s_waitcnt lgkmcnt(0)
	s_barrier
	v_add_u32_e32 v0, 0x400, v156
	ds_read2_b64 v[24:27], v8 offset0:125 offset1:210
	v_add_u32_e32 v8, 0x1800, v156
	v_fma_f64 v[72:73], v[76:77], s[6:7], v[72:73]
	v_fma_f64 v[76:77], v[22:23], s[6:7], v[18:19]
	;; [unrolled: 1-line block ×4, first 2 shown]
	ds_read2_b64 v[12:15], v0 offset0:127 offset1:212
	v_add_u32_e32 v0, 0x800, v156
	v_add_u32_e32 v4, 0x1000, v156
	ds_read2_b64 v[20:23], v8 offset0:167 offset1:252
	v_add_u32_e32 v8, 0x2000, v156
	v_fma_f64 v[54:55], v[16:17], s[6:7], v[30:31]
	v_fma_f64 v[82:83], v[6:7], s[6:7], v[2:3]
	ds_read2_b64 v[16:19], v156 offset0:85 offset1:170
	ds_read2_b64 v[0:3], v0 offset0:169 offset1:254
	;; [unrolled: 1-line block ×4, first 2 shown]
	ds_read_b64 v[30:31], v157
	ds_read_b64 v[44:45], v156 offset:10200
	s_waitcnt lgkmcnt(0)
	s_barrier
	ds_write2_b64 v69, v[52:53], v[66:67] offset1:17
	ds_write2_b64 v69, v[74:75], v[60:61] offset0:34 offset1:51
	ds_write_b64 v69, v[72:73] offset:544
	ds_write2_b64 v70, v[62:63], v[58:59] offset1:17
	ds_write2_b64 v70, v[54:55], v[56:57] offset0:34 offset1:51
	ds_write_b64 v70, v[50:51] offset:544
	;; [unrolled: 3-line block ×3, first 2 shown]
	s_and_saveexec_b64 s[2:3], s[0:1]
	s_cbranch_execz .LBB0_24
; %bb.23:
	v_add_f64 v[50:51], v[36:37], v[34:35]
	v_add_f64 v[46:47], v[46:47], -v[48:49]
	v_add_f64 v[48:49], v[32:33], v[38:39]
	v_add_f64 v[52:53], v[28:29], v[32:33]
	v_add_f64 v[40:41], v[40:41], -v[42:43]
	s_mov_b32 s0, 0x134454ff
	s_mov_b32 s1, 0xbfee6f0e
	;; [unrolled: 1-line block ×3, first 2 shown]
	v_fma_f64 v[42:43], v[50:51], -0.5, v[28:29]
	v_add_f64 v[50:51], v[32:33], -v[36:37]
	v_fma_f64 v[28:29], v[48:49], -0.5, v[28:29]
	v_add_f64 v[48:49], v[38:39], -v[34:35]
	v_add_f64 v[32:33], v[36:37], -v[32:33]
	v_add_f64 v[36:37], v[52:53], v[36:37]
	s_mov_b32 s8, s0
	v_add_f64 v[54:55], v[34:35], -v[38:39]
	v_fma_f64 v[52:53], v[46:47], s[0:1], v[42:43]
	v_fma_f64 v[42:43], v[46:47], s[8:9], v[42:43]
	;; [unrolled: 1-line block ×4, first 2 shown]
	s_mov_b32 s6, 0x4755a5e
	s_mov_b32 s7, 0xbfe2cf23
	v_add_f64 v[48:49], v[50:51], v[48:49]
	v_add_f64 v[34:35], v[36:37], v[34:35]
	v_fma_f64 v[36:37], v[40:41], s[6:7], v[52:53]
	s_mov_b32 s1, 0x3fe2cf23
	s_mov_b32 s0, s6
	v_fma_f64 v[50:51], v[46:47], s[6:7], v[56:57]
	v_add_f64 v[32:33], v[32:33], v[54:55]
	v_fma_f64 v[28:29], v[46:47], s[0:1], v[28:29]
	v_fma_f64 v[40:41], v[40:41], s[0:1], v[42:43]
	s_mov_b32 s0, 0x372fe950
	s_mov_b32 s1, 0x3fd3c6ef
	v_add_f64 v[34:35], v[34:35], v[38:39]
	v_fma_f64 v[36:37], v[48:49], s[0:1], v[36:37]
	v_fma_f64 v[38:39], v[32:33], s[0:1], v[50:51]
	;; [unrolled: 1-line block ×4, first 2 shown]
	v_add3_u32 v40, 0, v68, v174
	v_add_u32_e32 v41, 0x2400, v40
	ds_write2_b64 v41, v[34:35], v[36:37] offset0:123 offset1:140
	v_add_u32_e32 v34, 0x2800, v40
	ds_write2_b64 v34, v[38:39], v[28:29] offset0:29 offset1:46
	ds_write_b64 v40, v[32:33] offset:10744
.LBB0_24:
	s_or_b64 exec, exec, s[2:3]
	s_waitcnt lgkmcnt(0)
	s_barrier
	s_and_saveexec_b64 s[0:1], vcc
	s_cbranch_execz .LBB0_26
; %bb.25:
	v_mul_u32_u24_e32 v28, 15, v101
	v_lshlrev_b32_e32 v28, 4, v28
	global_load_dwordx4 v[32:35], v28, s[12:13] offset:1104
	global_load_dwordx4 v[36:39], v28, s[12:13] offset:1232
	;; [unrolled: 1-line block ×15, first 2 shown]
	v_add_u32_e32 v105, 0x1400, v156
	v_add_u32_e32 v109, 0x800, v156
	v_add_u32_e32 v113, 0x2000, v156
	v_add_u32_e32 v117, 0x1000, v156
	v_add_u32_e32 v121, 0x400, v156
	v_add_u32_e32 v125, 0x1800, v156
	v_mul_lo_u32 v159, s5, v98
	v_mul_lo_u32 v160, s4, v99
	v_mad_u64_u32 v[94:95], s[0:1], s4, v98, 0
	ds_read2_b64 v[101:104], v156 offset0:85 offset1:170
	ds_read_b64 v[28:29], v157
	ds_read_b64 v[98:99], v156 offset:10200
	ds_read2_b64 v[105:108], v105 offset0:125 offset1:210
	ds_read2_b64 v[109:112], v109 offset0:169 offset1:254
	;; [unrolled: 1-line block ×6, first 2 shown]
	s_mov_b32 s0, 0x667f3bcd
	s_mov_b32 s1, 0x3fe6a09e
	;; [unrolled: 1-line block ×12, first 2 shown]
	v_add3_u32 v95, v95, v160, v159
	s_movk_i32 s13, 0x1000
	s_movk_i32 s12, 0x2000
	s_waitcnt vmcnt(14) lgkmcnt(8)
	v_mul_f64 v[129:130], v[103:104], v[34:35]
	s_waitcnt vmcnt(13) lgkmcnt(5)
	v_mul_f64 v[131:132], v[107:108], v[38:39]
	s_waitcnt vmcnt(12)
	v_mul_f64 v[133:134], v[2:3], v[42:43]
	s_waitcnt vmcnt(11)
	;; [unrolled: 2-line block ×3, first 2 shown]
	v_mul_f64 v[137:138], v[6:7], v[52:53]
	s_waitcnt vmcnt(9) lgkmcnt(1)
	v_mul_f64 v[139:140], v[123:124], v[56:57]
	s_waitcnt vmcnt(8) lgkmcnt(0)
	v_mul_f64 v[141:142], v[127:128], v[60:61]
	v_mul_f64 v[34:35], v[18:19], v[34:35]
	;; [unrolled: 1-line block ×5, first 2 shown]
	s_waitcnt vmcnt(7)
	v_mul_f64 v[143:144], v[101:102], v[64:65]
	s_waitcnt vmcnt(6)
	v_mul_f64 v[145:146], v[105:106], v[68:69]
	;; [unrolled: 2-line block ×8, first 2 shown]
	v_mul_f64 v[80:81], v[12:13], v[80:81]
	v_mul_f64 v[84:85], v[20:21], v[84:85]
	;; [unrolled: 1-line block ×11, first 2 shown]
	v_fma_f64 v[18:19], v[18:19], v[32:33], -v[129:130]
	v_fma_f64 v[26:27], v[26:27], v[36:37], -v[131:132]
	v_fma_f64 v[111:112], v[111:112], v[40:41], v[133:134]
	v_fma_f64 v[115:116], v[115:116], v[46:47], v[135:136]
	v_fma_f64 v[119:120], v[119:120], v[50:51], v[137:138]
	v_fma_f64 v[14:15], v[14:15], v[54:55], -v[139:140]
	v_fma_f64 v[22:23], v[22:23], v[58:59], -v[141:142]
	v_fma_f64 v[32:33], v[32:33], v[103:104], v[34:35]
	v_fma_f64 v[34:35], v[36:37], v[107:108], v[38:39]
	v_fma_f64 v[2:3], v[2:3], v[40:41], -v[42:43]
	v_fma_f64 v[10:11], v[10:11], v[46:47], -v[48:49]
	;; [unrolled: 1-line block ×4, first 2 shown]
	v_fma_f64 v[36:37], v[109:110], v[70:71], v[147:148]
	v_fma_f64 v[38:39], v[113:114], v[74:75], v[149:150]
	v_fma_f64 v[12:13], v[12:13], v[78:79], -v[151:152]
	v_fma_f64 v[20:21], v[20:21], v[82:83], -v[153:154]
	v_fma_f64 v[40:41], v[117:118], v[86:87], v[155:156]
	v_fma_f64 v[42:43], v[98:99], v[90:91], v[157:158]
	;; [unrolled: 1-line block ×4, first 2 shown]
	v_fma_f64 v[4:5], v[4:5], v[86:87], -v[88:89]
	v_fma_f64 v[44:45], v[44:45], v[90:91], -v[92:93]
	v_fma_f64 v[62:63], v[62:63], v[101:102], v[64:65]
	v_fma_f64 v[64:65], v[66:67], v[105:106], v[68:69]
	v_fma_f64 v[0:1], v[0:1], v[70:71], -v[72:73]
	v_fma_f64 v[8:9], v[8:9], v[74:75], -v[76:77]
	;; [unrolled: 1-line block ×3, first 2 shown]
	v_fma_f64 v[50:51], v[54:55], v[123:124], v[56:57]
	v_fma_f64 v[58:59], v[58:59], v[127:128], v[60:61]
	v_add_f64 v[26:27], v[18:19], -v[26:27]
	v_add_f64 v[52:53], v[111:112], -v[115:116]
	;; [unrolled: 1-line block ×16, first 2 shown]
	v_add_f64 v[64:65], v[54:55], v[22:23]
	v_add_f64 v[60:61], v[34:35], v[10:11]
	;; [unrolled: 1-line block ×3, first 2 shown]
	v_add_f64 v[70:71], v[26:27], -v[52:53]
	v_add_f64 v[72:73], v[24:25], -v[38:39]
	;; [unrolled: 1-line block ×3, first 2 shown]
	v_fma_f64 v[28:29], v[28:29], 2.0, -v[54:55]
	v_add_f64 v[80:81], v[6:7], -v[58:59]
	v_fma_f64 v[50:51], v[50:51], 2.0, -v[58:59]
	v_fma_f64 v[18:19], v[18:19], 2.0, -v[26:27]
	;; [unrolled: 1-line block ×15, first 2 shown]
	v_add_f64 v[66:67], v[48:49], v[44:45]
	v_fma_f64 v[82:83], v[74:75], s[0:1], v[72:73]
	v_fma_f64 v[84:85], v[70:71], s[0:1], v[80:81]
	v_add_f64 v[38:39], v[28:29], -v[50:51]
	v_add_f64 v[42:43], v[18:19], -v[2:3]
	;; [unrolled: 1-line block ×8, first 2 shown]
	v_fma_f64 v[0:1], v[26:27], 2.0, -v[70:71]
	v_fma_f64 v[2:3], v[34:35], 2.0, -v[60:61]
	;; [unrolled: 1-line block ×5, first 2 shown]
	v_fma_f64 v[76:77], v[60:61], s[0:1], v[64:65]
	v_fma_f64 v[78:79], v[66:67], s[0:1], v[68:69]
	;; [unrolled: 1-line block ×4, first 2 shown]
	v_fma_f64 v[32:33], v[54:55], 2.0, -v[64:65]
	v_fma_f64 v[20:21], v[48:49], 2.0, -v[66:67]
	;; [unrolled: 1-line block ×3, first 2 shown]
	v_add_f64 v[54:55], v[42:43], v[38:39]
	v_add_f64 v[56:57], v[44:45], -v[16:17]
	v_add_f64 v[58:59], v[36:37], v[46:47]
	v_add_f64 v[60:61], v[50:51], -v[14:15]
	v_fma_f64 v[24:25], v[4:5], s[2:3], v[34:35]
	v_fma_f64 v[62:63], v[0:1], s[2:3], v[52:53]
	v_fma_f64 v[76:77], v[70:71], s[0:1], v[76:77]
	v_fma_f64 v[78:79], v[74:75], s[0:1], v[78:79]
	v_fma_f64 v[6:7], v[2:3], s[2:3], v[32:33]
	v_fma_f64 v[26:27], v[20:21], s[2:3], v[48:49]
	v_fma_f64 v[66:67], v[82:83], s[4:5], v[84:85]
	v_fma_f64 v[70:71], v[58:59], s[0:1], v[54:55]
	v_fma_f64 v[74:75], v[56:57], s[0:1], v[60:61]
	v_fma_f64 v[90:91], v[20:21], s[2:3], v[24:25]
	v_fma_f64 v[62:63], v[2:3], s[2:3], v[62:63]
	v_fma_f64 v[86:87], v[78:79], s[4:5], v[76:77]
	v_fma_f64 v[88:89], v[0:1], s[0:1], v[6:7]
	v_fma_f64 v[92:93], v[4:5], s[0:1], v[26:27]
	v_fma_f64 v[0:1], v[78:79], s[8:9], v[66:67]
	v_fma_f64 v[6:7], v[56:57], s[0:1], v[70:71]
	v_fma_f64 v[4:5], v[58:59], s[2:3], v[74:75]
	v_fma_f64 v[66:67], v[28:29], 2.0, -v[38:39]
	v_fma_f64 v[24:25], v[90:91], s[6:7], v[62:63]
	v_fma_f64 v[14:15], v[22:23], 2.0, -v[14:15]
	v_fma_f64 v[70:71], v[10:11], 2.0, -v[44:45]
	;; [unrolled: 1-line block ×7, first 2 shown]
	v_fma_f64 v[2:3], v[82:83], s[6:7], v[86:87]
	v_fma_f64 v[64:65], v[64:65], 2.0, -v[76:77]
	v_fma_f64 v[68:69], v[68:69], 2.0, -v[78:79]
	v_fma_f64 v[20:21], v[92:93], s[6:7], v[88:89]
	v_fma_f64 v[8:9], v[92:93], s[14:15], v[24:25]
	v_add_f64 v[42:43], v[66:67], -v[14:15]
	v_add_f64 v[74:75], v[70:71], -v[12:13]
	;; [unrolled: 1-line block ×4, first 2 shown]
	v_fma_f64 v[18:19], v[54:55], 2.0, -v[6:7]
	v_fma_f64 v[16:17], v[60:61], 2.0, -v[4:5]
	;; [unrolled: 1-line block ×13, first 2 shown]
	v_fma_f64 v[32:33], v[68:69], s[8:9], v[64:65]
	v_fma_f64 v[10:11], v[90:91], s[4:5], v[20:21]
	v_fma_f64 v[12:13], v[84:85], 2.0, -v[0:1]
	v_fma_f64 v[20:21], v[62:63], 2.0, -v[8:9]
	v_add_f64 v[26:27], v[42:43], v[74:75]
	v_fma_f64 v[62:63], v[38:39], s[2:3], v[56:57]
	v_fma_f64 v[78:79], v[48:49], s[14:15], v[58:59]
	;; [unrolled: 1-line block ×3, first 2 shown]
	v_fma_f64 v[66:67], v[66:67], 2.0, -v[42:43]
	v_fma_f64 v[82:83], v[40:41], 2.0, -v[98:99]
	;; [unrolled: 1-line block ×4, first 2 shown]
	v_fma_f64 v[52:53], v[36:37], s[2:3], v[54:55]
	v_fma_f64 v[50:51], v[72:73], s[8:9], v[76:77]
	;; [unrolled: 1-line block ×3, first 2 shown]
	v_fma_f64 v[30:31], v[42:43], 2.0, -v[26:27]
	v_fma_f64 v[36:37], v[36:37], s[2:3], v[62:63]
	v_fma_f64 v[42:43], v[44:45], s[6:7], v[78:79]
	v_fma_f64 v[40:41], v[48:49], s[8:9], v[80:81]
	v_add_f64 v[46:47], v[66:67], -v[82:83]
	v_add_f64 v[44:45], v[84:85], -v[70:71]
	;; [unrolled: 1-line block ×3, first 2 shown]
	v_fma_f64 v[38:39], v[38:39], s[0:1], v[52:53]
	v_fma_f64 v[32:33], v[68:69], s[14:15], v[50:51]
	v_fma_f64 v[50:51], v[64:65], 2.0, -v[34:35]
	v_lshlrev_b64 v[64:65], 4, v[94:95]
	v_fma_f64 v[52:53], v[56:57], 2.0, -v[36:37]
	v_fma_f64 v[56:57], v[60:61], 2.0, -v[40:41]
	;; [unrolled: 1-line block ×4, first 2 shown]
	v_mov_b32_e32 v66, s11
	v_add_co_u32_e32 v67, vcc, s10, v64
	v_fma_f64 v[58:59], v[58:59], 2.0, -v[42:43]
	v_addc_co_u32_e32 v66, vcc, v66, v65, vcc
	v_lshlrev_b64 v[64:65], 4, v[96:97]
	v_fma_f64 v[28:29], v[86:87], 2.0, -v[24:25]
	v_fma_f64 v[54:55], v[54:55], 2.0, -v[38:39]
	;; [unrolled: 1-line block ×4, first 2 shown]
	v_mov_b32_e32 v101, 0
	v_add_co_u32_e32 v67, vcc, v67, v64
	v_addc_co_u32_e32 v66, vcc, v66, v65, vcc
	v_lshlrev_b64 v[64:65], 4, v[100:101]
	s_movk_i32 s0, 0x3000
	v_add_co_u32_e32 v64, vcc, v67, v64
	v_addc_co_u32_e32 v65, vcc, v66, v65, vcc
	global_store_dwordx4 v[64:65], v[60:63], off
	global_store_dwordx4 v[64:65], v[56:59], off offset:1360
	global_store_dwordx4 v[64:65], v[52:55], off offset:2720
	;; [unrolled: 1-line block ×3, first 2 shown]
	s_nop 0
	v_add_co_u32_e32 v48, vcc, s13, v64
	v_addc_co_u32_e32 v49, vcc, 0, v65, vcc
	global_store_dwordx4 v[48:49], v[28:31], off offset:1344
	global_store_dwordx4 v[48:49], v[20:23], off offset:2704
	;; [unrolled: 1-line block ×3, first 2 shown]
	s_nop 0
	v_add_co_u32_e32 v16, vcc, s12, v64
	v_addc_co_u32_e32 v17, vcc, 0, v65, vcc
	global_store_dwordx4 v[16:17], v[12:15], off offset:1328
	global_store_dwordx4 v[16:17], v[44:47], off offset:2688
	global_store_dwordx4 v[16:17], v[40:43], off offset:4048
	v_add_co_u32_e32 v12, vcc, s0, v64
	v_addc_co_u32_e32 v13, vcc, 0, v65, vcc
	global_store_dwordx4 v[12:13], v[36:39], off offset:1312
	global_store_dwordx4 v[12:13], v[32:35], off offset:2672
	global_store_dwordx4 v[12:13], v[24:27], off offset:4032
	;; [unrolled: 5-line block ×3, first 2 shown]
.LBB0_26:
	s_endpgm
	.section	.rodata,"a",@progbits
	.p2align	6, 0x0
	.amdhsa_kernel fft_rtc_fwd_len1360_factors_17_5_16_wgs_255_tpt_85_halfLds_dp_op_CI_CI_unitstride_sbrr_dirReg
		.amdhsa_group_segment_fixed_size 0
		.amdhsa_private_segment_fixed_size 0
		.amdhsa_kernarg_size 104
		.amdhsa_user_sgpr_count 6
		.amdhsa_user_sgpr_private_segment_buffer 1
		.amdhsa_user_sgpr_dispatch_ptr 0
		.amdhsa_user_sgpr_queue_ptr 0
		.amdhsa_user_sgpr_kernarg_segment_ptr 1
		.amdhsa_user_sgpr_dispatch_id 0
		.amdhsa_user_sgpr_flat_scratch_init 0
		.amdhsa_user_sgpr_private_segment_size 0
		.amdhsa_uses_dynamic_stack 0
		.amdhsa_system_sgpr_private_segment_wavefront_offset 0
		.amdhsa_system_sgpr_workgroup_id_x 1
		.amdhsa_system_sgpr_workgroup_id_y 0
		.amdhsa_system_sgpr_workgroup_id_z 0
		.amdhsa_system_sgpr_workgroup_info 0
		.amdhsa_system_vgpr_workitem_id 0
		.amdhsa_next_free_vgpr 223
		.amdhsa_next_free_sgpr 58
		.amdhsa_reserve_vcc 1
		.amdhsa_reserve_flat_scratch 0
		.amdhsa_float_round_mode_32 0
		.amdhsa_float_round_mode_16_64 0
		.amdhsa_float_denorm_mode_32 3
		.amdhsa_float_denorm_mode_16_64 3
		.amdhsa_dx10_clamp 1
		.amdhsa_ieee_mode 1
		.amdhsa_fp16_overflow 0
		.amdhsa_exception_fp_ieee_invalid_op 0
		.amdhsa_exception_fp_denorm_src 0
		.amdhsa_exception_fp_ieee_div_zero 0
		.amdhsa_exception_fp_ieee_overflow 0
		.amdhsa_exception_fp_ieee_underflow 0
		.amdhsa_exception_fp_ieee_inexact 0
		.amdhsa_exception_int_div_zero 0
	.end_amdhsa_kernel
	.text
.Lfunc_end0:
	.size	fft_rtc_fwd_len1360_factors_17_5_16_wgs_255_tpt_85_halfLds_dp_op_CI_CI_unitstride_sbrr_dirReg, .Lfunc_end0-fft_rtc_fwd_len1360_factors_17_5_16_wgs_255_tpt_85_halfLds_dp_op_CI_CI_unitstride_sbrr_dirReg
                                        ; -- End function
	.section	.AMDGPU.csdata,"",@progbits
; Kernel info:
; codeLenInByte = 14396
; NumSgprs: 62
; NumVgprs: 223
; ScratchSize: 0
; MemoryBound: 1
; FloatMode: 240
; IeeeMode: 1
; LDSByteSize: 0 bytes/workgroup (compile time only)
; SGPRBlocks: 7
; VGPRBlocks: 55
; NumSGPRsForWavesPerEU: 62
; NumVGPRsForWavesPerEU: 223
; Occupancy: 1
; WaveLimiterHint : 1
; COMPUTE_PGM_RSRC2:SCRATCH_EN: 0
; COMPUTE_PGM_RSRC2:USER_SGPR: 6
; COMPUTE_PGM_RSRC2:TRAP_HANDLER: 0
; COMPUTE_PGM_RSRC2:TGID_X_EN: 1
; COMPUTE_PGM_RSRC2:TGID_Y_EN: 0
; COMPUTE_PGM_RSRC2:TGID_Z_EN: 0
; COMPUTE_PGM_RSRC2:TIDIG_COMP_CNT: 0
	.type	__hip_cuid_5ce0f102ed813303,@object ; @__hip_cuid_5ce0f102ed813303
	.section	.bss,"aw",@nobits
	.globl	__hip_cuid_5ce0f102ed813303
__hip_cuid_5ce0f102ed813303:
	.byte	0                               ; 0x0
	.size	__hip_cuid_5ce0f102ed813303, 1

	.ident	"AMD clang version 19.0.0git (https://github.com/RadeonOpenCompute/llvm-project roc-6.4.0 25133 c7fe45cf4b819c5991fe208aaa96edf142730f1d)"
	.section	".note.GNU-stack","",@progbits
	.addrsig
	.addrsig_sym __hip_cuid_5ce0f102ed813303
	.amdgpu_metadata
---
amdhsa.kernels:
  - .args:
      - .actual_access:  read_only
        .address_space:  global
        .offset:         0
        .size:           8
        .value_kind:     global_buffer
      - .offset:         8
        .size:           8
        .value_kind:     by_value
      - .actual_access:  read_only
        .address_space:  global
        .offset:         16
        .size:           8
        .value_kind:     global_buffer
      - .actual_access:  read_only
        .address_space:  global
        .offset:         24
        .size:           8
        .value_kind:     global_buffer
      - .actual_access:  read_only
        .address_space:  global
        .offset:         32
        .size:           8
        .value_kind:     global_buffer
      - .offset:         40
        .size:           8
        .value_kind:     by_value
      - .actual_access:  read_only
        .address_space:  global
        .offset:         48
        .size:           8
        .value_kind:     global_buffer
      - .actual_access:  read_only
        .address_space:  global
        .offset:         56
        .size:           8
        .value_kind:     global_buffer
      - .offset:         64
        .size:           4
        .value_kind:     by_value
      - .actual_access:  read_only
        .address_space:  global
        .offset:         72
        .size:           8
        .value_kind:     global_buffer
      - .actual_access:  read_only
        .address_space:  global
        .offset:         80
        .size:           8
        .value_kind:     global_buffer
      - .actual_access:  read_only
        .address_space:  global
        .offset:         88
        .size:           8
        .value_kind:     global_buffer
      - .actual_access:  write_only
        .address_space:  global
        .offset:         96
        .size:           8
        .value_kind:     global_buffer
    .group_segment_fixed_size: 0
    .kernarg_segment_align: 8
    .kernarg_segment_size: 104
    .language:       OpenCL C
    .language_version:
      - 2
      - 0
    .max_flat_workgroup_size: 255
    .name:           fft_rtc_fwd_len1360_factors_17_5_16_wgs_255_tpt_85_halfLds_dp_op_CI_CI_unitstride_sbrr_dirReg
    .private_segment_fixed_size: 0
    .sgpr_count:     62
    .sgpr_spill_count: 0
    .symbol:         fft_rtc_fwd_len1360_factors_17_5_16_wgs_255_tpt_85_halfLds_dp_op_CI_CI_unitstride_sbrr_dirReg.kd
    .uniform_work_group_size: 1
    .uses_dynamic_stack: false
    .vgpr_count:     223
    .vgpr_spill_count: 0
    .wavefront_size: 64
amdhsa.target:   amdgcn-amd-amdhsa--gfx906
amdhsa.version:
  - 1
  - 2
...

	.end_amdgpu_metadata
